;; amdgpu-corpus repo=ROCm/rocFFT kind=compiled arch=gfx1030 opt=O3
	.text
	.amdgcn_target "amdgcn-amd-amdhsa--gfx1030"
	.amdhsa_code_object_version 6
	.protected	fft_rtc_fwd_len1575_factors_3_3_5_7_5_wgs_63_tpt_63_halfLds_sp_ip_CI_unitstride_sbrr_dirReg ; -- Begin function fft_rtc_fwd_len1575_factors_3_3_5_7_5_wgs_63_tpt_63_halfLds_sp_ip_CI_unitstride_sbrr_dirReg
	.globl	fft_rtc_fwd_len1575_factors_3_3_5_7_5_wgs_63_tpt_63_halfLds_sp_ip_CI_unitstride_sbrr_dirReg
	.p2align	8
	.type	fft_rtc_fwd_len1575_factors_3_3_5_7_5_wgs_63_tpt_63_halfLds_sp_ip_CI_unitstride_sbrr_dirReg,@function
fft_rtc_fwd_len1575_factors_3_3_5_7_5_wgs_63_tpt_63_halfLds_sp_ip_CI_unitstride_sbrr_dirReg: ; @fft_rtc_fwd_len1575_factors_3_3_5_7_5_wgs_63_tpt_63_halfLds_sp_ip_CI_unitstride_sbrr_dirReg
; %bb.0:
	s_clause 0x2
	s_load_dwordx4 s[8:11], s[4:5], 0x0
	s_load_dwordx2 s[2:3], s[4:5], 0x50
	s_load_dwordx2 s[12:13], s[4:5], 0x18
	v_mul_u32_u24_e32 v1, 0x411, v0
	v_mov_b32_e32 v3, 0
	v_add_nc_u32_sdwa v5, s6, v1 dst_sel:DWORD dst_unused:UNUSED_PAD src0_sel:DWORD src1_sel:WORD_1
	v_mov_b32_e32 v1, 0
	v_mov_b32_e32 v6, v3
	v_mov_b32_e32 v2, 0
	s_waitcnt lgkmcnt(0)
	v_cmp_lt_u64_e64 s0, s[10:11], 2
	s_and_b32 vcc_lo, exec_lo, s0
	s_cbranch_vccnz .LBB0_8
; %bb.1:
	s_load_dwordx2 s[0:1], s[4:5], 0x10
	v_mov_b32_e32 v1, 0
	s_add_u32 s6, s12, 8
	v_mov_b32_e32 v2, 0
	s_addc_u32 s7, s13, 0
	s_mov_b64 s[16:17], 1
	s_waitcnt lgkmcnt(0)
	s_add_u32 s14, s0, 8
	s_addc_u32 s15, s1, 0
.LBB0_2:                                ; =>This Inner Loop Header: Depth=1
	s_load_dwordx2 s[18:19], s[14:15], 0x0
                                        ; implicit-def: $vgpr7_vgpr8
	s_mov_b32 s0, exec_lo
	s_waitcnt lgkmcnt(0)
	v_or_b32_e32 v4, s19, v6
	v_cmpx_ne_u64_e32 0, v[3:4]
	s_xor_b32 s1, exec_lo, s0
	s_cbranch_execz .LBB0_4
; %bb.3:                                ;   in Loop: Header=BB0_2 Depth=1
	v_cvt_f32_u32_e32 v4, s18
	v_cvt_f32_u32_e32 v7, s19
	s_sub_u32 s0, 0, s18
	s_subb_u32 s20, 0, s19
	v_fmac_f32_e32 v4, 0x4f800000, v7
	v_rcp_f32_e32 v4, v4
	v_mul_f32_e32 v4, 0x5f7ffffc, v4
	v_mul_f32_e32 v7, 0x2f800000, v4
	v_trunc_f32_e32 v7, v7
	v_fmac_f32_e32 v4, 0xcf800000, v7
	v_cvt_u32_f32_e32 v7, v7
	v_cvt_u32_f32_e32 v4, v4
	v_mul_lo_u32 v8, s0, v7
	v_mul_hi_u32 v9, s0, v4
	v_mul_lo_u32 v10, s20, v4
	v_add_nc_u32_e32 v8, v9, v8
	v_mul_lo_u32 v9, s0, v4
	v_add_nc_u32_e32 v8, v8, v10
	v_mul_hi_u32 v10, v4, v9
	v_mul_lo_u32 v11, v4, v8
	v_mul_hi_u32 v12, v4, v8
	v_mul_hi_u32 v13, v7, v9
	v_mul_lo_u32 v9, v7, v9
	v_mul_hi_u32 v14, v7, v8
	v_mul_lo_u32 v8, v7, v8
	v_add_co_u32 v10, vcc_lo, v10, v11
	v_add_co_ci_u32_e32 v11, vcc_lo, 0, v12, vcc_lo
	v_add_co_u32 v9, vcc_lo, v10, v9
	v_add_co_ci_u32_e32 v9, vcc_lo, v11, v13, vcc_lo
	v_add_co_ci_u32_e32 v10, vcc_lo, 0, v14, vcc_lo
	v_add_co_u32 v8, vcc_lo, v9, v8
	v_add_co_ci_u32_e32 v9, vcc_lo, 0, v10, vcc_lo
	v_add_co_u32 v4, vcc_lo, v4, v8
	v_add_co_ci_u32_e32 v7, vcc_lo, v7, v9, vcc_lo
	v_mul_hi_u32 v8, s0, v4
	v_mul_lo_u32 v10, s20, v4
	v_mul_lo_u32 v9, s0, v7
	v_add_nc_u32_e32 v8, v8, v9
	v_mul_lo_u32 v9, s0, v4
	v_add_nc_u32_e32 v8, v8, v10
	v_mul_hi_u32 v10, v4, v9
	v_mul_lo_u32 v11, v4, v8
	v_mul_hi_u32 v12, v4, v8
	v_mul_hi_u32 v13, v7, v9
	v_mul_lo_u32 v9, v7, v9
	v_mul_hi_u32 v14, v7, v8
	v_mul_lo_u32 v8, v7, v8
	v_add_co_u32 v10, vcc_lo, v10, v11
	v_add_co_ci_u32_e32 v11, vcc_lo, 0, v12, vcc_lo
	v_add_co_u32 v9, vcc_lo, v10, v9
	v_add_co_ci_u32_e32 v9, vcc_lo, v11, v13, vcc_lo
	v_add_co_ci_u32_e32 v10, vcc_lo, 0, v14, vcc_lo
	v_add_co_u32 v8, vcc_lo, v9, v8
	v_add_co_ci_u32_e32 v9, vcc_lo, 0, v10, vcc_lo
	v_add_co_u32 v4, vcc_lo, v4, v8
	v_add_co_ci_u32_e32 v11, vcc_lo, v7, v9, vcc_lo
	v_mul_hi_u32 v13, v5, v4
	v_mad_u64_u32 v[9:10], null, v6, v4, 0
	v_mad_u64_u32 v[7:8], null, v5, v11, 0
	;; [unrolled: 1-line block ×3, first 2 shown]
	v_add_co_u32 v4, vcc_lo, v13, v7
	v_add_co_ci_u32_e32 v7, vcc_lo, 0, v8, vcc_lo
	v_add_co_u32 v4, vcc_lo, v4, v9
	v_add_co_ci_u32_e32 v4, vcc_lo, v7, v10, vcc_lo
	v_add_co_ci_u32_e32 v7, vcc_lo, 0, v12, vcc_lo
	v_add_co_u32 v4, vcc_lo, v4, v11
	v_add_co_ci_u32_e32 v9, vcc_lo, 0, v7, vcc_lo
	v_mul_lo_u32 v10, s19, v4
	v_mad_u64_u32 v[7:8], null, s18, v4, 0
	v_mul_lo_u32 v11, s18, v9
	v_sub_co_u32 v7, vcc_lo, v5, v7
	v_add3_u32 v8, v8, v11, v10
	v_sub_nc_u32_e32 v10, v6, v8
	v_subrev_co_ci_u32_e64 v10, s0, s19, v10, vcc_lo
	v_add_co_u32 v11, s0, v4, 2
	v_add_co_ci_u32_e64 v12, s0, 0, v9, s0
	v_sub_co_u32 v13, s0, v7, s18
	v_sub_co_ci_u32_e32 v8, vcc_lo, v6, v8, vcc_lo
	v_subrev_co_ci_u32_e64 v10, s0, 0, v10, s0
	v_cmp_le_u32_e32 vcc_lo, s18, v13
	v_cmp_eq_u32_e64 s0, s19, v8
	v_cndmask_b32_e64 v13, 0, -1, vcc_lo
	v_cmp_le_u32_e32 vcc_lo, s19, v10
	v_cndmask_b32_e64 v14, 0, -1, vcc_lo
	v_cmp_le_u32_e32 vcc_lo, s18, v7
	;; [unrolled: 2-line block ×3, first 2 shown]
	v_cndmask_b32_e64 v15, 0, -1, vcc_lo
	v_cmp_eq_u32_e32 vcc_lo, s19, v10
	v_cndmask_b32_e64 v7, v15, v7, s0
	v_cndmask_b32_e32 v10, v14, v13, vcc_lo
	v_add_co_u32 v13, vcc_lo, v4, 1
	v_add_co_ci_u32_e32 v14, vcc_lo, 0, v9, vcc_lo
	v_cmp_ne_u32_e32 vcc_lo, 0, v10
	v_cndmask_b32_e32 v8, v14, v12, vcc_lo
	v_cndmask_b32_e32 v10, v13, v11, vcc_lo
	v_cmp_ne_u32_e32 vcc_lo, 0, v7
	v_cndmask_b32_e32 v8, v9, v8, vcc_lo
	v_cndmask_b32_e32 v7, v4, v10, vcc_lo
.LBB0_4:                                ;   in Loop: Header=BB0_2 Depth=1
	s_andn2_saveexec_b32 s0, s1
	s_cbranch_execz .LBB0_6
; %bb.5:                                ;   in Loop: Header=BB0_2 Depth=1
	v_cvt_f32_u32_e32 v4, s18
	s_sub_i32 s1, 0, s18
	v_rcp_iflag_f32_e32 v4, v4
	v_mul_f32_e32 v4, 0x4f7ffffe, v4
	v_cvt_u32_f32_e32 v4, v4
	v_mul_lo_u32 v7, s1, v4
	v_mul_hi_u32 v7, v4, v7
	v_add_nc_u32_e32 v4, v4, v7
	v_mul_hi_u32 v4, v5, v4
	v_mul_lo_u32 v7, v4, s18
	v_add_nc_u32_e32 v8, 1, v4
	v_sub_nc_u32_e32 v7, v5, v7
	v_subrev_nc_u32_e32 v9, s18, v7
	v_cmp_le_u32_e32 vcc_lo, s18, v7
	v_cndmask_b32_e32 v7, v7, v9, vcc_lo
	v_cndmask_b32_e32 v4, v4, v8, vcc_lo
	v_cmp_le_u32_e32 vcc_lo, s18, v7
	v_add_nc_u32_e32 v8, 1, v4
	v_cndmask_b32_e32 v7, v4, v8, vcc_lo
	v_mov_b32_e32 v8, v3
.LBB0_6:                                ;   in Loop: Header=BB0_2 Depth=1
	s_or_b32 exec_lo, exec_lo, s0
	s_load_dwordx2 s[0:1], s[6:7], 0x0
	v_mul_lo_u32 v4, v8, s18
	v_mul_lo_u32 v11, v7, s19
	v_mad_u64_u32 v[9:10], null, v7, s18, 0
	s_add_u32 s16, s16, 1
	s_addc_u32 s17, s17, 0
	s_add_u32 s6, s6, 8
	s_addc_u32 s7, s7, 0
	;; [unrolled: 2-line block ×3, first 2 shown]
	v_add3_u32 v4, v10, v11, v4
	v_sub_co_u32 v5, vcc_lo, v5, v9
	v_sub_co_ci_u32_e32 v4, vcc_lo, v6, v4, vcc_lo
	s_waitcnt lgkmcnt(0)
	v_mul_lo_u32 v6, s1, v5
	v_mul_lo_u32 v4, s0, v4
	v_mad_u64_u32 v[1:2], null, s0, v5, v[1:2]
	v_cmp_ge_u64_e64 s0, s[16:17], s[10:11]
	s_and_b32 vcc_lo, exec_lo, s0
	v_add3_u32 v2, v6, v2, v4
	s_cbranch_vccnz .LBB0_9
; %bb.7:                                ;   in Loop: Header=BB0_2 Depth=1
	v_mov_b32_e32 v5, v7
	v_mov_b32_e32 v6, v8
	s_branch .LBB0_2
.LBB0_8:
	v_mov_b32_e32 v8, v6
	v_mov_b32_e32 v7, v5
.LBB0_9:
	s_lshl_b64 s[0:1], s[10:11], 3
	v_mul_hi_u32 v5, 0x4104105, v0
	s_add_u32 s0, s12, s0
	s_addc_u32 s1, s13, s1
                                        ; implicit-def: $vgpr73
                                        ; implicit-def: $vgpr63
                                        ; implicit-def: $vgpr65
                                        ; implicit-def: $vgpr51
                                        ; implicit-def: $vgpr53
                                        ; implicit-def: $vgpr13
                                        ; implicit-def: $vgpr59
                                        ; implicit-def: $vgpr67
                                        ; implicit-def: $vgpr21
                                        ; implicit-def: $vgpr47
                                        ; implicit-def: $vgpr31
                                        ; implicit-def: $vgpr19
                                        ; implicit-def: $vgpr43
                                        ; implicit-def: $vgpr45
                                        ; implicit-def: $vgpr55
                                        ; implicit-def: $vgpr49
                                        ; implicit-def: $vgpr57
                                        ; implicit-def: $vgpr61
                                        ; implicit-def: $vgpr69
                                        ; implicit-def: $vgpr75
                                        ; implicit-def: $vgpr17
                                        ; implicit-def: $vgpr71
                                        ; implicit-def: $vgpr39
                                        ; implicit-def: $vgpr77
                                        ; implicit-def: $vgpr41
	s_load_dwordx2 s[0:1], s[0:1], 0x0
	s_load_dwordx2 s[4:5], s[4:5], 0x20
	s_waitcnt lgkmcnt(0)
	v_mul_lo_u32 v3, s0, v8
	v_mul_lo_u32 v4, s1, v7
	v_mad_u64_u32 v[1:2], null, s0, v7, v[1:2]
	v_cmp_gt_u64_e32 vcc_lo, s[4:5], v[7:8]
                                        ; implicit-def: $vgpr8
	v_add3_u32 v2, v4, v2, v3
	v_mul_u32_u24_e32 v3, 63, v5
	v_lshlrev_b64 v[32:33], 3, v[1:2]
	v_sub_nc_u32_e32 v34, v0, v3
                                        ; implicit-def: $vgpr1
	s_and_saveexec_b32 s1, vcc_lo
	s_cbranch_execz .LBB0_13
; %bb.10:
	v_mov_b32_e32 v35, 0
	v_add_co_u32 v0, s0, s2, v32
	v_add_co_ci_u32_e64 v3, s0, s3, v33, s0
	v_lshlrev_b64 v[1:2], 3, v[34:35]
	s_mov_b32 s4, exec_lo
                                        ; implicit-def: $vgpr48
                                        ; implicit-def: $vgpr54
	v_add_co_u32 v1, s0, v0, v1
	v_add_co_ci_u32_e64 v2, s0, v3, v2, s0
                                        ; implicit-def: $vgpr0
	v_add_co_u32 v5, s0, 0x1000, v1
	v_add_co_ci_u32_e64 v6, s0, 0, v2, s0
	v_add_co_u32 v3, s0, 0x2000, v1
	v_add_co_ci_u32_e64 v4, s0, 0, v2, s0
	v_add_co_u32 v9, s0, 0x1800, v1
	v_add_co_ci_u32_e64 v10, s0, 0, v2, s0
	v_add_co_u32 v14, s0, 0x2800, v1
	v_add_co_ci_u32_e64 v15, s0, 0, v2, s0
	s_clause 0xb
	global_load_dwordx2 v[50:51], v[5:6], off offset:1112
	global_load_dwordx2 v[52:53], v[3:4], off offset:1216
	global_load_dwordx2 v[7:8], v[1:2], off
	global_load_dwordx2 v[40:41], v[1:2], off offset:504
	global_load_dwordx2 v[38:39], v[1:2], off offset:1008
	;; [unrolled: 1-line block ×9, first 2 shown]
	v_add_co_u32 v5, s0, 0x800, v1
	v_add_co_ci_u32_e64 v6, s0, 0, v2, s0
	s_clause 0xb
	global_load_dwordx2 v[58:59], v[3:4], off offset:1720
	global_load_dwordx2 v[74:75], v[9:10], off offset:72
	;; [unrolled: 1-line block ×12, first 2 shown]
	v_cmpx_gt_u32_e32 21, v34
; %bb.11:
	v_add_co_u32 v0, s0, 0x3000, v1
	v_add_co_ci_u32_e64 v1, s0, 0, v2, s0
	s_clause 0x2
	global_load_dwordx2 v[48:49], v[0:1], off offset:144
	global_load_dwordx2 v[0:1], v[5:6], off offset:1984
	;; [unrolled: 1-line block ×3, first 2 shown]
; %bb.12:
	s_or_b32 exec_lo, exec_lo, s4
.LBB0_13:
	s_or_b32 exec_lo, exec_lo, s1
	s_waitcnt vmcnt(13)
	v_add_f32_e32 v2, v72, v62
	v_add_f32_e32 v4, v76, v64
	;; [unrolled: 1-line block ×3, first 2 shown]
	v_sub_f32_e32 v5, v73, v63
	v_add_f32_e32 v6, v50, v52
	v_fmac_f32_e32 v7, -0.5, v2
	v_add_f32_e32 v2, v40, v64
	v_fmac_f32_e32 v40, -0.5, v4
	v_sub_f32_e32 v4, v65, v77
	v_mad_u32_u24 v14, v34, 12, 0
	v_add_f32_e32 v3, v3, v62
	v_fmamk_f32 v9, v5, 0x3f5db3d7, v7
	v_add_f32_e32 v11, v38, v50
	v_fmac_f32_e32 v38, -0.5, v6
	v_sub_f32_e32 v6, v51, v53
	v_add_f32_e32 v2, v76, v2
	v_fmamk_f32 v10, v4, 0x3f5db3d7, v40
	ds_write2_b32 v14, v3, v9 offset1:1
	ds_write2_b32 v14, v2, v10 offset0:189 offset1:190
	v_add_f32_e32 v2, v11, v52
	v_fmamk_f32 v9, v6, 0x3f5db3d7, v38
	v_add_nc_u32_e32 v81, 0x5e8, v14
	s_waitcnt vmcnt(11)
	v_add_f32_e32 v3, v70, v58
	s_waitcnt vmcnt(4)
	v_add_f32_e32 v10, v74, v66
	v_add_f32_e32 v11, v70, v12
	;; [unrolled: 1-line block ×3, first 2 shown]
	ds_write2_b32 v81, v2, v9 offset1:1
	v_add_f32_e32 v9, v68, v46
	v_fmac_f32_e32 v12, -0.5, v3
	v_sub_f32_e32 v3, v71, v59
	v_fmac_f32_e32 v16, -0.5, v10
	v_sub_f32_e32 v10, v75, v67
	s_waitcnt vmcnt(1)
	v_add_f32_e32 v2, v20, v46
	v_fmac_f32_e32 v20, -0.5, v9
	v_sub_f32_e32 v9, v47, v69
	v_add_f32_e32 v11, v11, v58
	v_fmamk_f32 v23, v3, 0x3f5db3d7, v12
	v_add_nc_u32_e32 v22, 0x8dc, v14
	v_add_f32_e32 v15, v15, v66
	v_fmamk_f32 v24, v10, 0x3f5db3d7, v16
	v_add_nc_u32_e32 v82, 0xbd0, v14
	v_fmac_f32_e32 v16, 0xbf5db3d7, v10
	v_add_f32_e32 v2, v2, v68
	v_add_nc_u32_e32 v10, 0xb00, v14
	v_fmac_f32_e32 v40, 0xbf5db3d7, v4
	v_add_f32_e32 v4, v56, v60
	v_fmac_f32_e32 v7, 0xbf5db3d7, v5
	v_fmac_f32_e32 v38, 0xbf5db3d7, v6
	;; [unrolled: 1-line block ×3, first 2 shown]
	v_add_nc_u32_e32 v5, 0x500, v14
	v_fmamk_f32 v3, v9, 0x3f5db3d7, v20
	v_fmac_f32_e32 v20, 0xbf5db3d7, v9
	v_add_nc_u32_e32 v6, 0xec8, v14
	ds_write2_b32 v22, v11, v23 offset1:1
	ds_write2_b32 v82, v15, v24 offset1:1
	v_add_f32_e32 v9, v60, v30
	v_fmac_f32_e32 v30, -0.5, v4
	v_sub_f32_e32 v4, v61, v57
	ds_write2_b32 v10, v16, v2 offset0:54 offset1:241
	ds_write2_b32 v5, v38, v12 offset0:60 offset1:249
	;; [unrolled: 1-line block ×3, first 2 shown]
	ds_write2_b32 v6, v3, v20 offset1:1
	s_waitcnt vmcnt(0)
	v_add_f32_e32 v6, v54, v48
	v_add_f32_e32 v3, v42, v44
	;; [unrolled: 1-line block ×3, first 2 shown]
	v_fmamk_f32 v2, v4, 0x3f5db3d7, v30
	v_fmac_f32_e32 v30, 0xbf5db3d7, v4
	v_add_f32_e32 v4, v56, v9
	v_add_f32_e32 v9, v54, v0
	v_fmac_f32_e32 v0, -0.5, v6
	v_sub_f32_e32 v6, v55, v49
	v_fmac_f32_e32 v18, -0.5, v3
	v_sub_f32_e32 v3, v43, v45
	v_add_f32_e32 v79, v48, v9
	v_cmp_gt_u32_e64 s0, 21, v34
	v_fmamk_f32 v80, v6, 0x3f5db3d7, v0
	v_fmac_f32_e32 v0, 0xbf5db3d7, v6
	v_add_nc_u32_e32 v20, 0xec4, v22
	v_add_nc_u32_e32 v7, 0x11bc, v14
	v_fmamk_f32 v10, v3, 0x3f5db3d7, v18
	v_fmac_f32_e32 v18, 0xbf5db3d7, v3
	v_add_f32_e32 v3, v5, v44
	v_add_nc_u32_e32 v5, 0x14b0, v14
	ds_write_b32 v14, v4 offset:4536
	ds_write2_b32 v7, v2, v30 offset1:1
	ds_write_b32 v14, v3 offset:5292
	ds_write2_b32 v5, v10, v18 offset1:1
	s_and_saveexec_b32 s1, s0
	s_cbranch_execz .LBB0_15
; %bb.14:
	ds_write2_b32 v20, v79, v80 offset1:1
	ds_write_b32 v22, v0 offset:3788
.LBB0_15:
	s_or_b32 exec_lo, exec_lo, s1
	v_lshl_add_u32 v78, v34, 2, 0
	s_waitcnt lgkmcnt(0)
	s_barrier
	buffer_gl0_inv
	v_add_nc_u32_e32 v6, 0x800, v78
	v_add_nc_u32_e32 v7, 0x1000, v78
	;; [unrolled: 1-line block ×3, first 2 shown]
	ds_read2_b32 v[4:5], v78 offset1:63
	ds_read2_b32 v[2:3], v78 offset0:126 offset1:189
	ds_read2_b32 v[25:26], v6 offset0:13 offset1:76
	;; [unrolled: 1-line block ×4, first 2 shown]
	v_add_nc_u32_e32 v6, 0x200, v78
	v_add_nc_u32_e32 v27, 0x1400, v78
	;; [unrolled: 1-line block ×3, first 2 shown]
	ds_read2_b32 v[23:24], v7 offset0:152 offset1:215
	ds_read2_b32 v[9:10], v6 offset0:124 offset1:187
	;; [unrolled: 1-line block ×7, first 2 shown]
	s_and_saveexec_b32 s1, s0
	s_cbranch_execz .LBB0_17
; %bb.16:
	ds_read_b32 v79, v78 offset:2016
	ds_read_b32 v80, v78 offset:4116
	;; [unrolled: 1-line block ×3, first 2 shown]
.LBB0_17:
	s_or_b32 exec_lo, exec_lo, s1
	v_add_f32_e32 v18, v73, v63
	v_add_f32_e32 v40, v8, v73
	v_sub_f32_e32 v62, v72, v62
	v_add_f32_e32 v72, v77, v65
	v_sub_f32_e32 v50, v50, v52
	v_fmac_f32_e32 v8, -0.5, v18
	v_add_f32_e32 v18, v41, v65
	v_add_f32_e32 v65, v51, v53
	;; [unrolled: 1-line block ×3, first 2 shown]
	v_fmac_f32_e32 v41, -0.5, v72
	v_fmamk_f32 v63, v62, 0xbf5db3d7, v8
	v_fmac_f32_e32 v8, 0x3f5db3d7, v62
	v_sub_f32_e32 v62, v64, v76
	v_add_f32_e32 v51, v39, v51
	v_fmac_f32_e32 v39, -0.5, v65
	v_add_f32_e32 v64, v71, v13
	v_sub_f32_e32 v46, v46, v68
	v_fmamk_f32 v52, v62, 0xbf5db3d7, v41
	v_fmac_f32_e32 v41, 0x3f5db3d7, v62
	v_add_f32_e32 v51, v51, v53
	v_add_f32_e32 v53, v71, v59
	v_fmamk_f32 v62, v50, 0xbf5db3d7, v39
	v_fmac_f32_e32 v39, 0x3f5db3d7, v50
	v_add_f32_e32 v50, v75, v67
	v_add_f32_e32 v18, v77, v18
	v_fmac_f32_e32 v13, -0.5, v53
	v_sub_f32_e32 v53, v70, v58
	v_add_f32_e32 v58, v64, v59
	v_add_f32_e32 v59, v75, v17
	v_fmac_f32_e32 v17, -0.5, v50
	v_sub_f32_e32 v50, v74, v66
	v_fmamk_f32 v64, v53, 0xbf5db3d7, v13
	v_fmac_f32_e32 v13, 0x3f5db3d7, v53
	v_add_f32_e32 v53, v59, v67
	v_add_f32_e32 v59, v69, v47
	v_fmamk_f32 v65, v50, 0xbf5db3d7, v17
	v_fmac_f32_e32 v17, 0x3f5db3d7, v50
	v_add_f32_e32 v50, v57, v61
	v_add_f32_e32 v47, v21, v47
	v_fmac_f32_e32 v21, -0.5, v59
	v_add_f32_e32 v59, v61, v31
	v_sub_f32_e32 v42, v42, v44
	v_fmac_f32_e32 v31, -0.5, v50
	v_sub_f32_e32 v50, v60, v56
	v_fmamk_f32 v56, v46, 0xbf5db3d7, v21
	v_fmac_f32_e32 v21, 0x3f5db3d7, v46
	v_add_f32_e32 v46, v57, v59
	v_add_f32_e32 v57, v43, v45
	v_fmamk_f32 v59, v50, 0xbf5db3d7, v31
	v_fmac_f32_e32 v31, 0x3f5db3d7, v50
	v_add_f32_e32 v50, v55, v49
	v_add_f32_e32 v44, v55, v1
	v_sub_f32_e32 v48, v54, v48
	v_add_f32_e32 v43, v19, v43
	v_fmac_f32_e32 v19, -0.5, v57
	v_fmac_f32_e32 v1, -0.5, v50
	s_waitcnt lgkmcnt(0)
	s_barrier
	buffer_gl0_inv
	ds_write2_b32 v14, v40, v63 offset1:1
	v_add_nc_u32_e32 v40, 0x500, v14
	v_add_f32_e32 v47, v47, v69
	v_add_f32_e32 v55, v49, v44
	v_fmamk_f32 v57, v48, 0xbf5db3d7, v1
	v_fmac_f32_e32 v1, 0x3f5db3d7, v48
	ds_write2_b32 v14, v18, v52 offset0:189 offset1:190
	ds_write2_b32 v14, v8, v41 offset0:2 offset1:191
	ds_write2_b32 v81, v51, v62 offset1:1
	ds_write2_b32 v22, v58, v64 offset1:1
	ds_write2_b32 v40, v39, v13 offset0:60 offset1:249
	ds_write2_b32 v82, v53, v65 offset1:1
	v_add_nc_u32_e32 v8, 0xec4, v14
	v_add_nc_u32_e32 v13, 0xb00, v14
	;; [unrolled: 1-line block ×3, first 2 shown]
	v_add_f32_e32 v43, v43, v45
	v_fmamk_f32 v45, v42, 0xbf5db3d7, v19
	v_add_nc_u32_e32 v39, 0x14ac, v14
	v_fmac_f32_e32 v19, 0x3f5db3d7, v42
	v_add_nc_u32_e32 v14, 0x1100, v14
	ds_write2_b32 v8, v47, v56 offset1:1
	ds_write2_b32 v13, v17, v21 offset0:54 offset1:243
	ds_write2_b32 v18, v46, v59 offset1:1
	ds_write2_b32 v39, v43, v45 offset1:1
	ds_write2_b32 v14, v31, v19 offset0:48 offset1:237
	s_and_saveexec_b32 s1, s0
	s_cbranch_execz .LBB0_19
; %bb.18:
	ds_write2_b32 v20, v55, v57 offset1:1
	ds_write_b32 v22, v1 offset:3788
.LBB0_19:
	s_or_b32 exec_lo, exec_lo, s1
	v_add_nc_u32_e32 v8, 0x800, v78
	v_add_nc_u32_e32 v19, 0x1000, v78
	s_waitcnt lgkmcnt(0)
	s_barrier
	buffer_gl0_inv
	ds_read2_b32 v[17:18], v78 offset1:63
	ds_read2_b32 v[43:44], v8 offset0:13 offset1:76
	ds_read2_b32 v[41:42], v19 offset0:26 offset1:89
	;; [unrolled: 1-line block ×4, first 2 shown]
	v_add_nc_u32_e32 v8, 0x200, v78
	v_add_nc_u32_e32 v31, 0xc00, v78
	;; [unrolled: 1-line block ×4, first 2 shown]
	ds_read2_b32 v[45:46], v19 offset0:152 offset1:215
	ds_read2_b32 v[21:22], v8 offset0:124 offset1:187
	;; [unrolled: 1-line block ×7, first 2 shown]
	s_and_saveexec_b32 s1, s0
	s_cbranch_execz .LBB0_21
; %bb.20:
	ds_read_b32 v55, v78 offset:2016
	ds_read_b32 v57, v78 offset:4116
	;; [unrolled: 1-line block ×3, first 2 shown]
.LBB0_21:
	s_or_b32 exec_lo, exec_lo, s1
	v_add_nc_u32_e32 v61, 0xfc, v34
	v_mov_b32_e32 v8, 0xaaab
	v_mov_b32_e32 v69, 4
	v_add_nc_u32_e32 v56, 0x13b, v34
	v_add_nc_u32_e32 v94, 0x1f8, v34
	v_mov_b32_e32 v95, 36
	v_mul_u32_u24_sdwa v31, v61, v8 dst_sel:DWORD dst_unused:UNUSED_PAD src0_sel:WORD_0 src1_sel:DWORD
	v_mov_b32_e32 v76, 2
	v_lshrrev_b32_e32 v58, 17, v31
	v_mul_lo_u16 v31, v58, 3
	v_sub_nc_u16 v60, v61, v31
	v_lshlrev_b32_sdwa v31, v69, v60 dst_sel:DWORD dst_unused:UNUSED_PAD src0_sel:DWORD src1_sel:WORD_0
	global_load_dwordx4 v[70:73], v31, s[8:9]
	v_mul_u32_u24_sdwa v31, v56, v8 dst_sel:DWORD dst_unused:UNUSED_PAD src0_sel:WORD_0 src1_sel:DWORD
	v_lshrrev_b32_e32 v59, 17, v31
	v_mul_lo_u16 v31, v59, 3
	v_sub_nc_u16 v68, v56, v31
	v_lshlrev_b32_sdwa v31, v69, v68 dst_sel:DWORD dst_unused:UNUSED_PAD src0_sel:DWORD src1_sel:WORD_0
	v_lshlrev_b32_sdwa v68, v76, v68 dst_sel:DWORD dst_unused:UNUSED_PAD src0_sel:DWORD src1_sel:WORD_0
	global_load_dwordx4 v[81:84], v31, s[8:9]
	v_add_nc_u32_e32 v31, 0x17a, v34
	v_mul_u32_u24_sdwa v56, v31, v8 dst_sel:DWORD dst_unused:UNUSED_PAD src0_sel:WORD_0 src1_sel:DWORD
	v_lshrrev_b32_e32 v74, 17, v56
	v_add_nc_u32_e32 v56, 0x1b9, v34
	v_mul_lo_u16 v62, v74, 3
	v_mul_u32_u24_sdwa v63, v56, v8 dst_sel:DWORD dst_unused:UNUSED_PAD src0_sel:WORD_0 src1_sel:DWORD
	v_mul_u32_u24_sdwa v8, v94, v8 dst_sel:DWORD dst_unused:UNUSED_PAD src0_sel:WORD_0 src1_sel:DWORD
	v_mul_u32_u24_e32 v74, 36, v74
	v_sub_nc_u16 v75, v31, v62
	v_lshrrev_b32_e32 v77, 17, v63
	v_add_nc_u32_e32 v63, 0xbd, v34
	v_lshrrev_b32_e32 v8, 17, v8
	v_lshlrev_b32_sdwa v31, v69, v75 dst_sel:DWORD dst_unused:UNUSED_PAD src0_sel:DWORD src1_sel:WORD_0
	v_mul_lo_u16 v62, v77, 3
	v_and_b32_e32 v64, 0xff, v63
	v_mul_u32_u24_e32 v77, 36, v77
	v_lshlrev_b32_sdwa v75, v76, v75 dst_sel:DWORD dst_unused:UNUSED_PAD src0_sel:DWORD src1_sel:WORD_0
	global_load_dwordx4 v[85:88], v31, s[8:9]
	v_sub_nc_u16 v93, v56, v62
	v_and_b32_e32 v56, 0xff, v34
	v_add_nc_u32_e32 v62, 0x7e, v34
	v_lshlrev_b32_sdwa v31, v69, v93 dst_sel:DWORD dst_unused:UNUSED_PAD src0_sel:DWORD src1_sel:WORD_0
	v_mul_lo_u16 v67, 0xab, v56
	v_and_b32_e32 v65, 0xff, v62
	v_lshlrev_b32_sdwa v104, v76, v93 dst_sel:DWORD dst_unused:UNUSED_PAD src0_sel:DWORD src1_sel:WORD_0
	global_load_dwordx4 v[89:92], v31, s[8:9]
	v_add_nc_u32_e32 v31, 63, v34
	v_lshrrev_b16 v96, 9, v67
	v_mul_lo_u16 v98, 0xab, v65
	v_and_b32_e32 v66, 0xff, v31
	v_mul_lo_u16 v97, 0xab, v66
	s_waitcnt vmcnt(3)
	v_mul_f32_e32 v67, v35, v73
	s_waitcnt lgkmcnt(4)
	v_mul_f32_e32 v99, v53, v71
	v_mul_f32_e32 v71, v37, v71
	s_waitcnt lgkmcnt(3)
	v_mul_f32_e32 v100, v51, v73
	v_mul_lo_u16 v73, 0xab, v64
	v_fmac_f32_e32 v67, v51, v72
	v_mul_lo_u16 v51, v96, 3
	v_fma_f32 v37, v37, v70, -v99
	v_fmac_f32_e32 v71, v53, v70
	v_mul_lo_u16 v53, v8, 3
	v_lshrrev_b16 v70, 9, v97
	v_sub_nc_u16 v51, v34, v51
	v_fma_f32 v35, v35, v72, -v100
	v_lshrrev_b16 v72, 9, v98
	v_mul_u32_u24_sdwa v96, v96, v95 dst_sel:DWORD dst_unused:UNUSED_PAD src0_sel:WORD_0 src1_sel:DWORD
	v_mul_u32_u24_e32 v97, 36, v58
	v_mul_u32_u24_e32 v98, 36, v59
	v_lshlrev_b32_sdwa v59, v76, v51 dst_sel:DWORD dst_unused:UNUSED_PAD src0_sel:DWORD src1_sel:BYTE_0
	v_sub_nc_u16 v58, v94, v53
	v_mul_lo_u16 v53, v70, 3
	v_lshrrev_b16 v73, 9, v73
	v_mul_lo_u16 v94, v72, 3
	v_add3_u32 v59, 0, v96, v59
	v_lshlrev_b32_sdwa v99, v69, v51 dst_sel:DWORD dst_unused:UNUSED_PAD src0_sel:DWORD src1_sel:BYTE_0
	v_sub_nc_u16 v102, v31, v53
	v_lshlrev_b32_sdwa v53, v76, v60 dst_sel:DWORD dst_unused:UNUSED_PAD src0_sel:DWORD src1_sel:WORD_0
	s_waitcnt vmcnt(2)
	v_mul_f32_e32 v96, v54, v82
	v_mul_u32_u24_sdwa v101, v73, v95 dst_sel:DWORD dst_unused:UNUSED_PAD src0_sel:WORD_0 src1_sel:DWORD
	v_mul_lo_u16 v73, v73, 3
	v_mul_u32_u24_sdwa v70, v70, v95 dst_sel:DWORD dst_unused:UNUSED_PAD src0_sel:WORD_0 src1_sel:DWORD
	v_add3_u32 v60, 0, v97, v53
	v_fma_f32 v51, v38, v81, -v96
	v_mul_f32_e32 v38, v38, v82
	v_lshlrev_b32_sdwa v82, v69, v58 dst_sel:DWORD dst_unused:UNUSED_PAD src0_sel:DWORD src1_sel:WORD_0
	v_mul_f32_e32 v53, v52, v84
	v_mul_u32_u24_sdwa v72, v72, v95 dst_sel:DWORD dst_unused:UNUSED_PAD src0_sel:WORD_0 src1_sel:DWORD
	v_sub_nc_u16 v103, v62, v94
	v_sub_nc_u16 v73, v63, v73
	v_add3_u32 v68, 0, v98, v68
	s_clause 0x1
	global_load_dwordx4 v[93:96], v82, s[8:9]
	global_load_dwordx4 v[97:100], v99, s[8:9]
	v_fma_f32 v53, v36, v83, -v53
	v_mul_f32_e32 v36, v36, v84
	v_fmac_f32_e32 v38, v54, v81
	v_lshlrev_b32_sdwa v82, v69, v102 dst_sel:DWORD dst_unused:UNUSED_PAD src0_sel:DWORD src1_sel:BYTE_0
	v_lshlrev_b32_sdwa v105, v69, v103 dst_sel:DWORD dst_unused:UNUSED_PAD src0_sel:DWORD src1_sel:BYTE_0
	;; [unrolled: 1-line block ×3, first 2 shown]
	v_fmac_f32_e32 v36, v52, v83
	v_add3_u32 v69, 0, v77, v104
	v_add3_u32 v54, 0, v74, v75
	v_lshlrev_b32_sdwa v74, v76, v102 dst_sel:DWORD dst_unused:UNUSED_PAD src0_sel:DWORD src1_sel:BYTE_0
	v_lshlrev_b32_sdwa v75, v76, v103 dst_sel:DWORD dst_unused:UNUSED_PAD src0_sel:DWORD src1_sel:BYTE_0
	s_waitcnt vmcnt(3) lgkmcnt(1)
	v_mul_f32_e32 v81, v49, v86
	v_mul_f32_e32 v77, v29, v86
	s_waitcnt lgkmcnt(0)
	v_mul_f32_e32 v83, v47, v88
	v_mul_f32_e32 v52, v27, v88
	v_lshlrev_b32_sdwa v88, v76, v73 dst_sel:DWORD dst_unused:UNUSED_PAD src0_sel:DWORD src1_sel:BYTE_0
	v_fma_f32 v81, v29, v85, -v81
	v_fmac_f32_e32 v77, v49, v85
	v_fma_f32 v49, v27, v87, -v83
	v_fmac_f32_e32 v52, v47, v87
	global_load_dwordx4 v[84:87], v82, s[8:9]
	v_add3_u32 v73, 0, v70, v74
	v_add3_u32 v74, 0, v72, v75
	v_add3_u32 v75, 0, v101, v88
	s_clause 0x1
	global_load_dwordx4 v[101:104], v105, s[8:9]
	global_load_dwordx4 v[105:108], v106, s[8:9]
	s_waitcnt vmcnt(5)
	v_mul_f32_e32 v27, v30, v90
	v_mul_lo_u16 v70, v8, 9
	v_mul_f32_e32 v29, v50, v90
	v_mul_f32_e32 v47, v48, v92
	s_waitcnt vmcnt(0)
	v_fmac_f32_e32 v27, v50, v89
	s_barrier
	v_fma_f32 v30, v30, v89, -v29
	v_mul_f32_e32 v29, v28, v92
	v_fma_f32 v28, v28, v91, -v47
	buffer_gl0_inv
	v_fmac_f32_e32 v29, v48, v91
	v_sub_f32_e32 v90, v27, v29
	v_mul_f32_e32 v72, v0, v96
	v_mul_f32_e32 v8, v43, v98
	;; [unrolled: 1-line block ×5, first 2 shown]
	v_fmac_f32_e32 v72, v1, v95
	v_fma_f32 v50, v25, v97, -v8
	v_mul_f32_e32 v8, v57, v94
	v_mul_f32_e32 v47, v15, v100
	v_fma_f32 v82, v15, v99, -v82
	v_mul_f32_e32 v15, v80, v94
	v_fma_f32 v0, v0, v95, -v83
	v_fma_f32 v1, v80, v93, -v8
	v_fmac_f32_e32 v48, v43, v97
	v_fmac_f32_e32 v47, v41, v99
	;; [unrolled: 1-line block ×3, first 2 shown]
	v_add_f32_e32 v93, v6, v81
	v_add_f32_e32 v91, v1, v0
	v_sub_f32_e32 v92, v15, v72
	v_add_f32_e32 v93, v93, v49
	v_mul_f32_e32 v8, v44, v85
	v_mul_f32_e32 v80, v26, v85
	;; [unrolled: 1-line block ×6, first 2 shown]
	v_fma_f32 v26, v26, v84, -v8
	v_mul_f32_e32 v8, v46, v108
	v_mul_f32_e32 v88, v45, v104
	;; [unrolled: 1-line block ×5, first 2 shown]
	v_fmac_f32_e32 v80, v44, v84
	v_fma_f32 v44, v16, v86, -v85
	v_fma_f32 v16, v11, v101, -v87
	;; [unrolled: 1-line block ×4, first 2 shown]
	v_add_f32_e32 v8, v4, v50
	v_add_f32_e32 v24, v50, v82
	v_mul_f32_e32 v41, v23, v104
	v_fma_f32 v23, v23, v103, -v88
	v_fmac_f32_e32 v83, v42, v86
	v_add_f32_e32 v42, v37, v35
	v_fmac_f32_e32 v57, v39, v101
	v_sub_f32_e32 v39, v48, v47
	v_add_f32_e32 v84, v51, v53
	v_add_f32_e32 v86, v81, v49
	;; [unrolled: 1-line block ×3, first 2 shown]
	v_fma_f32 v4, -0.5, v24, v4
	v_add_f32_e32 v24, v8, v82
	v_add_f32_e32 v8, v26, v44
	v_fmac_f32_e32 v41, v45, v103
	v_add_f32_e32 v96, v16, v23
	v_fmac_f32_e32 v43, v40, v105
	v_fmac_f32_e32 v25, v46, v107
	v_add_f32_e32 v40, v9, v37
	v_add_f32_e32 v97, v11, v12
	v_fma_f32 v42, -0.5, v42, v9
	v_fma_f32 v9, -0.5, v91, v79
	v_sub_f32_e32 v45, v71, v67
	v_add_f32_e32 v46, v10, v51
	v_sub_f32_e32 v85, v38, v36
	v_sub_f32_e32 v87, v77, v52
	v_add_f32_e32 v88, v7, v30
	v_add_f32_e32 v94, v5, v26
	v_sub_f32_e32 v95, v80, v83
	v_fmac_f32_e32 v10, -0.5, v84
	v_fmac_f32_e32 v7, -0.5, v89
	v_fma_f32 v6, -0.5, v86, v6
	v_fmamk_f32 v98, v39, 0x3f5db3d7, v4
	v_fmac_f32_e32 v5, -0.5, v8
	v_sub_f32_e32 v84, v57, v41
	v_add_f32_e32 v91, v2, v16
	v_fma_f32 v2, -0.5, v96, v2
	v_add_f32_e32 v89, v3, v11
	v_sub_f32_e32 v86, v43, v25
	v_fmac_f32_e32 v4, 0xbf5db3d7, v39
	v_fmac_f32_e32 v3, -0.5, v97
	v_fmamk_f32 v8, v92, 0x3f5db3d7, v9
	v_fmac_f32_e32 v9, 0xbf5db3d7, v92
	v_fmamk_f32 v39, v45, 0x3f5db3d7, v42
	v_fmac_f32_e32 v42, 0xbf5db3d7, v45
	;; [unrolled: 2-line block ×5, first 2 shown]
	v_add_f32_e32 v90, v94, v44
	ds_write2_b32 v59, v24, v98 offset1:3
	v_fmamk_f32 v24, v95, 0x3f5db3d7, v5
	v_fmac_f32_e32 v5, 0xbf5db3d7, v95
	v_add_f32_e32 v91, v91, v23
	v_fmamk_f32 v92, v84, 0x3f5db3d7, v2
	v_fmac_f32_e32 v2, 0xbf5db3d7, v84
	v_add_f32_e32 v40, v40, v35
	v_add_f32_e32 v46, v46, v53
	;; [unrolled: 1-line block ×4, first 2 shown]
	v_fmamk_f32 v84, v86, 0x3f5db3d7, v3
	v_fmac_f32_e32 v3, 0xbf5db3d7, v86
	ds_write_b32 v59, v4 offset:24
	ds_write2_b32 v73, v90, v24 offset1:3
	ds_write_b32 v73, v5 offset:24
	ds_write2_b32 v74, v91, v92 offset1:3
	;; [unrolled: 2-line block ×7, first 2 shown]
	ds_write_b32 v69, v7 offset:24
	s_and_saveexec_b32 s1, s0
	s_cbranch_execz .LBB0_23
; %bb.22:
	v_add_f32_e32 v2, v79, v1
	v_lshlrev_b32_sdwa v3, v76, v58 dst_sel:DWORD dst_unused:UNUSED_PAD src0_sel:DWORD src1_sel:WORD_0
	v_lshlrev_b32_sdwa v4, v76, v70 dst_sel:DWORD dst_unused:UNUSED_PAD src0_sel:DWORD src1_sel:WORD_0
	v_add_f32_e32 v2, v2, v0
	v_add3_u32 v3, 0, v3, v4
	ds_write2_b32 v3, v2, v8 offset1:3
	ds_write_b32 v3, v9 offset:24
.LBB0_23:
	s_or_b32 exec_lo, exec_lo, s1
	v_add_f32_e32 v5, v80, v83
	v_add_f32_e32 v6, v18, v80
	v_sub_f32_e32 v7, v26, v44
	v_add_f32_e32 v10, v13, v57
	v_add_f32_e32 v2, v48, v47
	v_fmac_f32_e32 v18, -0.5, v5
	v_sub_f32_e32 v4, v50, v82
	v_add_f32_e32 v3, v17, v48
	v_add_f32_e32 v79, v10, v41
	;; [unrolled: 1-line block ×3, first 2 shown]
	v_fmamk_f32 v76, v7, 0xbf5db3d7, v18
	v_fmac_f32_e32 v18, 0x3f5db3d7, v7
	v_add_f32_e32 v7, v43, v25
	v_fma_f32 v2, -0.5, v2, v17
	v_add_f32_e32 v82, v10, v25
	v_add_f32_e32 v10, v71, v67
	;; [unrolled: 1-line block ×3, first 2 shown]
	v_fmac_f32_e32 v14, -0.5, v7
	v_sub_f32_e32 v7, v11, v12
	v_fmamk_f32 v5, v4, 0xbf5db3d7, v2
	v_fmac_f32_e32 v2, 0x3f5db3d7, v4
	v_add_f32_e32 v4, v6, v83
	v_add_f32_e32 v6, v57, v41
	v_fmamk_f32 v83, v7, 0xbf5db3d7, v14
	v_add_f32_e32 v11, v21, v71
	v_fmac_f32_e32 v14, 0x3f5db3d7, v7
	v_add_f32_e32 v7, v38, v36
	v_fma_f32 v71, -0.5, v10, v21
	v_sub_f32_e32 v10, v37, v35
	v_fma_f32 v6, -0.5, v6, v13
	v_sub_f32_e32 v13, v16, v23
	v_add_f32_e32 v84, v11, v67
	v_add_f32_e32 v11, v22, v38
	v_fmac_f32_e32 v22, -0.5, v7
	v_sub_f32_e32 v7, v51, v53
	v_add_f32_e32 v12, v77, v52
	v_fmamk_f32 v85, v10, 0xbf5db3d7, v71
	v_fmac_f32_e32 v71, 0x3f5db3d7, v10
	v_add_f32_e32 v10, v19, v77
	v_fmamk_f32 v80, v13, 0xbf5db3d7, v6
	v_fmac_f32_e32 v6, 0x3f5db3d7, v13
	v_fmamk_f32 v87, v7, 0xbf5db3d7, v22
	v_fma_f32 v77, -0.5, v12, v19
	v_sub_f32_e32 v12, v81, v49
	v_fmac_f32_e32 v22, 0x3f5db3d7, v7
	v_add_f32_e32 v7, v27, v29
	v_add_f32_e32 v13, v20, v27
	v_add_nc_u32_e32 v47, 0x800, v78
	v_add_nc_u32_e32 v19, 0x200, v78
	v_add_nc_u32_e32 v48, 0xc00, v78
	v_add_nc_u32_e32 v50, 0xa00, v78
	v_add_nc_u32_e32 v57, 0x1200, v78
	v_add_nc_u32_e32 v51, 0x1400, v78
	v_add_nc_u32_e32 v49, 0x400, v78
	v_add_nc_u32_e32 v53, 0x600, v78
	v_add_f32_e32 v81, v10, v52
	v_add_nc_u32_e32 v21, 0xe00, v78
	v_add_nc_u32_e32 v52, 0x1000, v78
	v_add_f32_e32 v86, v11, v36
	v_fmamk_f32 v88, v12, 0xbf5db3d7, v77
	v_fmac_f32_e32 v20, -0.5, v7
	v_sub_f32_e32 v7, v30, v28
	v_sub_f32_e32 v0, v1, v0
	v_fmac_f32_e32 v77, 0x3f5db3d7, v12
	v_add_f32_e32 v1, v13, v29
	s_waitcnt lgkmcnt(0)
	s_barrier
	buffer_gl0_inv
	ds_read2_b32 v[16:17], v78 offset1:63
	ds_read2_b32 v[12:13], v19 offset0:124 offset1:187
	ds_read2_b32 v[45:46], v47 offset0:118 offset1:181
	;; [unrolled: 1-line block ×11, first 2 shown]
	ds_read_b32 v67, v78 offset:6048
	v_add_f32_e32 v10, v15, v72
	v_fmamk_f32 v89, v7, 0xbf5db3d7, v20
	v_fmac_f32_e32 v20, 0x3f5db3d7, v7
	s_waitcnt lgkmcnt(0)
	s_barrier
	v_fma_f32 v11, -0.5, v10, v55
	buffer_gl0_inv
	ds_write2_b32 v59, v3, v5 offset1:3
	ds_write_b32 v59, v2 offset:24
	ds_write2_b32 v73, v4, v76 offset1:3
	ds_write_b32 v73, v18 offset:24
	ds_write2_b32 v74, v79, v80 offset1:3
	ds_write_b32 v74, v6 offset:24
	ds_write2_b32 v75, v82, v83 offset1:3
	ds_write_b32 v75, v14 offset:24
	ds_write2_b32 v60, v84, v85 offset1:3
	ds_write_b32 v60, v71 offset:24
	ds_write2_b32 v68, v86, v87 offset1:3
	ds_write_b32 v68, v22 offset:24
	ds_write2_b32 v54, v81, v88 offset1:3
	ds_write_b32 v54, v77 offset:24
	ds_write2_b32 v69, v1, v89 offset1:3
	ds_write_b32 v69, v20 offset:24
	v_fmamk_f32 v10, v0, 0xbf5db3d7, v11
	v_fmac_f32_e32 v11, 0x3f5db3d7, v0
	s_and_saveexec_b32 s1, s0
	s_cbranch_execz .LBB0_25
; %bb.24:
	v_mov_b32_e32 v0, 2
	v_add_f32_e32 v1, v55, v15
	v_lshlrev_b32_sdwa v2, v0, v58 dst_sel:DWORD dst_unused:UNUSED_PAD src0_sel:DWORD src1_sel:WORD_0
	v_lshlrev_b32_sdwa v0, v0, v70 dst_sel:DWORD dst_unused:UNUSED_PAD src0_sel:DWORD src1_sel:WORD_0
	v_add_f32_e32 v1, v1, v72
	v_add3_u32 v0, 0, v2, v0
	ds_write2_b32 v0, v1, v10 offset1:3
	ds_write_b32 v0, v11 offset:24
.LBB0_25:
	s_or_b32 exec_lo, exec_lo, s1
	v_mul_lo_u16 v0, v56, 57
	v_mov_b32_e32 v1, 5
	s_waitcnt lgkmcnt(0)
	s_barrier
	buffer_gl0_inv
	v_lshrrev_b16 v68, 9, v0
	v_mov_b32_e32 v3, 0xe38f
	v_cmp_gt_u32_e64 s0, 36, v34
	v_mul_lo_u16 v0, v68, 9
	v_sub_nc_u16 v77, v34, v0
	v_mul_lo_u16 v0, v66, 57
	v_lshlrev_b32_sdwa v2, v1, v77 dst_sel:DWORD dst_unused:UNUSED_PAD src0_sel:DWORD src1_sel:BYTE_0
	v_lshrrev_b16 v115, 9, v0
	s_clause 0x1
	global_load_dwordx4 v[70:73], v2, s[8:9] offset:48
	global_load_dwordx4 v[79:82], v2, s[8:9] offset:64
	v_mul_lo_u16 v0, v115, 9
	v_mul_lo_u16 v2, v64, 57
	v_sub_nc_u16 v116, v31, v0
	v_lshrrev_b16 v119, 9, v2
	v_lshlrev_b32_sdwa v0, v1, v116 dst_sel:DWORD dst_unused:UNUSED_PAD src0_sel:DWORD src1_sel:BYTE_0
	v_mul_lo_u16 v2, v119, 9
	s_clause 0x1
	global_load_dwordx4 v[83:86], v0, s[8:9] offset:48
	global_load_dwordx4 v[87:90], v0, s[8:9] offset:64
	v_mul_lo_u16 v0, v65, 57
	v_sub_nc_u16 v120, v63, v2
	v_lshrrev_b16 v117, 9, v0
	v_lshlrev_b32_sdwa v2, v1, v120 dst_sel:DWORD dst_unused:UNUSED_PAD src0_sel:DWORD src1_sel:BYTE_0
	v_mul_lo_u16 v0, v117, 9
	s_clause 0x1
	global_load_dwordx4 v[101:104], v2, s[8:9] offset:48
	global_load_dwordx4 v[105:108], v2, s[8:9] offset:64
	v_sub_nc_u16 v118, v62, v0
	v_lshlrev_b32_sdwa v0, v1, v118 dst_sel:DWORD dst_unused:UNUSED_PAD src0_sel:DWORD src1_sel:BYTE_0
	s_clause 0x1
	global_load_dwordx4 v[91:94], v0, s[8:9] offset:48
	global_load_dwordx4 v[97:100], v0, s[8:9] offset:64
	v_mul_u32_u24_sdwa v0, v61, v3 dst_sel:DWORD dst_unused:UNUSED_PAD src0_sel:WORD_0 src1_sel:DWORD
	v_lshrrev_b32_e32 v121, 19, v0
	v_mul_lo_u16 v0, v121, 9
	v_sub_nc_u16 v122, v61, v0
	v_lshlrev_b32_sdwa v0, v1, v122 dst_sel:DWORD dst_unused:UNUSED_PAD src0_sel:DWORD src1_sel:WORD_0
	s_clause 0x1
	global_load_dwordx4 v[4:7], v0, s[8:9] offset:48
	global_load_dwordx4 v[0:3], v0, s[8:9] offset:64
	ds_read2_b32 v[14:15], v19 offset0:124 offset1:187
	ds_read2_b32 v[58:59], v47 offset0:118 offset1:181
	;; [unrolled: 1-line block ×6, first 2 shown]
	s_waitcnt vmcnt(9) lgkmcnt(5)
	v_mul_f32_e32 v18, v15, v71
	v_mul_f32_e32 v56, v13, v71
	s_waitcnt lgkmcnt(4)
	v_mul_f32_e32 v19, v58, v73
	v_mul_f32_e32 v57, v45, v73
	s_waitcnt vmcnt(8)
	v_mul_f32_e32 v54, v43, v82
	v_fma_f32 v69, v13, v70, -v18
	s_waitcnt lgkmcnt(3)
	v_mul_f32_e32 v13, v110, v80
	v_fmac_f32_e32 v56, v15, v70
	v_fma_f32 v70, v45, v72, -v19
	v_fmac_f32_e32 v57, v58, v72
	v_mul_f32_e32 v58, v26, v80
	v_fma_f32 v72, v26, v79, -v13
	s_waitcnt lgkmcnt(2)
	v_mul_f32_e32 v15, v74, v82
	ds_read2_b32 v[19:20], v78 offset1:63
	v_fmac_f32_e32 v54, v74, v81
	v_fmac_f32_e32 v58, v110, v79
	s_waitcnt vmcnt(7)
	v_mul_f32_e32 v13, v59, v86
	s_waitcnt vmcnt(6) lgkmcnt(1)
	v_mul_f32_e32 v26, v111, v88
	v_fma_f32 v76, v43, v81, -v15
	v_mul_f32_e32 v15, v46, v86
	v_mul_f32_e32 v21, v95, v84
	v_fma_f32 v55, v46, v85, -v13
	v_mul_f32_e32 v13, v75, v90
	v_mul_f32_e32 v45, v44, v90
	;; [unrolled: 1-line block ×3, first 2 shown]
	v_fma_f32 v88, v39, v87, -v26
	v_mov_b32_e32 v26, 2
	v_fma_f32 v60, v44, v89, -v13
	ds_read2_b32 v[43:44], v50 offset0:116 offset1:179
	v_mov_b32_e32 v13, 0xb4
	v_mul_f32_e32 v18, v41, v84
	v_fmac_f32_e32 v15, v59, v85
	v_fma_f32 v59, v41, v83, -v21
	ds_read2_b32 v[21:22], v78 offset0:126 offset1:189
	v_fmac_f32_e32 v46, v111, v87
	ds_read2_b32 v[110:111], v51 offset0:106 offset1:169
	ds_read2_b32 v[113:114], v53 offset0:120 offset1:183
	v_mul_u32_u24_sdwa v39, v68, v13 dst_sel:DWORD dst_unused:UNUSED_PAD src0_sel:WORD_0 src1_sel:DWORD
	v_mul_u32_u24_sdwa v41, v115, v13 dst_sel:DWORD dst_unused:UNUSED_PAD src0_sel:WORD_0 src1_sel:DWORD
	v_lshlrev_b32_sdwa v71, v26, v77 dst_sel:DWORD dst_unused:UNUSED_PAD src0_sel:DWORD src1_sel:BYTE_0
	v_lshlrev_b32_sdwa v73, v26, v116 dst_sel:DWORD dst_unused:UNUSED_PAD src0_sel:DWORD src1_sel:BYTE_0
	ds_read2_b32 v[115:116], v52 offset0:110 offset1:173
	v_mul_u32_u24_sdwa v68, v117, v13 dst_sel:DWORD dst_unused:UNUSED_PAD src0_sel:WORD_0 src1_sel:DWORD
	v_mul_u32_u24_sdwa v13, v119, v13 dst_sel:DWORD dst_unused:UNUSED_PAD src0_sel:WORD_0 src1_sel:DWORD
	v_lshlrev_b32_sdwa v79, v26, v120 dst_sel:DWORD dst_unused:UNUSED_PAD src0_sel:DWORD src1_sel:BYTE_0
	v_add3_u32 v74, 0, v39, v71
	ds_read_b32 v39, v78 offset:6048
	v_lshlrev_b32_sdwa v77, v26, v118 dst_sel:DWORD dst_unused:UNUSED_PAD src0_sel:DWORD src1_sel:BYTE_0
	v_lshlrev_b32_sdwa v26, v26, v122 dst_sel:DWORD dst_unused:UNUSED_PAD src0_sel:DWORD src1_sel:WORD_0
	v_mul_u32_u24_e32 v80, 0xb4, v121
	v_add3_u32 v71, 0, v13, v79
	s_waitcnt vmcnt(3)
	v_mul_f32_e32 v13, v96, v92
	v_fmac_f32_e32 v18, v95, v83
	v_fmac_f32_e32 v45, v75, v89
	v_add3_u32 v75, 0, v41, v73
	v_add3_u32 v73, 0, v68, v77
	;; [unrolled: 1-line block ×3, first 2 shown]
	v_mul_f32_e32 v84, v42, v92
	s_waitcnt lgkmcnt(5)
	v_mul_f32_e32 v26, v43, v94
	v_fma_f32 v95, v42, v91, -v13
	s_waitcnt vmcnt(2)
	v_mul_f32_e32 v13, v112, v98
	v_mul_f32_e32 v85, v37, v94
	;; [unrolled: 1-line block ×3, first 2 shown]
	v_fmac_f32_e32 v84, v96, v91
	s_waitcnt lgkmcnt(3)
	v_mul_f32_e32 v41, v110, v100
	v_fma_f32 v94, v37, v93, -v26
	s_waitcnt lgkmcnt(2)
	v_mul_f32_e32 v26, v113, v102
	v_fma_f32 v96, v40, v97, -v13
	s_waitcnt lgkmcnt(1)
	v_mul_f32_e32 v13, v115, v106
	v_mul_f32_e32 v40, v111, v108
	;; [unrolled: 1-line block ×4, first 2 shown]
	v_fmac_f32_e32 v86, v112, v97
	v_mul_f32_e32 v82, v36, v108
	v_fma_f32 v98, v35, v99, -v41
	v_fma_f32 v90, v29, v101, -v26
	;; [unrolled: 1-line block ×4, first 2 shown]
	s_waitcnt vmcnt(1)
	v_mul_f32_e32 v13, v114, v5
	v_mul_f32_e32 v35, v30, v5
	;; [unrolled: 1-line block ×4, first 2 shown]
	s_waitcnt vmcnt(0)
	v_mul_f32_e32 v7, v116, v1
	v_mul_f32_e32 v83, v28, v1
	s_waitcnt lgkmcnt(0)
	v_mul_f32_e32 v26, v39, v3
	v_mul_f32_e32 v80, v38, v104
	v_fmac_f32_e32 v85, v43, v93
	v_mul_f32_e32 v81, v27, v106
	v_fma_f32 v91, v38, v103, -v37
	v_mul_f32_e32 v1, v67, v3
	v_fma_f32 v89, v30, v4, -v13
	v_fma_f32 v93, v28, v0, -v7
	v_fmac_f32_e32 v83, v116, v0
	v_fma_f32 v0, v67, v2, -v26
	v_sub_f32_e32 v7, v69, v70
	v_sub_f32_e32 v13, v76, v72
	;; [unrolled: 1-line block ×4, first 2 shown]
	v_mul_f32_e32 v79, v29, v102
	v_fmac_f32_e32 v80, v44, v103
	v_fmac_f32_e32 v35, v114, v4
	v_fma_f32 v3, v25, v6, -v5
	v_add_f32_e32 v4, v70, v72
	v_add_f32_e32 v25, v69, v76
	;; [unrolled: 1-line block ×3, first 2 shown]
	v_sub_f32_e32 v41, v55, v59
	v_sub_f32_e32 v42, v88, v60
	;; [unrolled: 1-line block ×4, first 2 shown]
	v_fmac_f32_e32 v81, v115, v105
	v_fmac_f32_e32 v36, v109, v6
	;; [unrolled: 1-line block ×3, first 2 shown]
	v_add_f32_e32 v28, v17, v59
	v_sub_f32_e32 v38, v59, v55
	v_sub_f32_e32 v39, v60, v88
	v_add_f32_e32 v43, v23, v95
	v_add_f32_e32 v44, v94, v96
	;; [unrolled: 1-line block ×4, first 2 shown]
	v_sub_f32_e32 v108, v90, v91
	v_sub_f32_e32 v109, v97, v92
	v_add_f32_e32 v7, v7, v13
	v_sub_f32_e32 v13, v91, v90
	v_add_f32_e32 v26, v26, v27
	v_sub_f32_e32 v27, v92, v97
	v_fmac_f32_e32 v87, v110, v99
	v_fmac_f32_e32 v82, v111, v107
	v_add_f32_e32 v2, v16, v69
	v_sub_f32_e32 v5, v56, v54
	v_add_f32_e32 v40, v59, v60
	v_fma_f32 v111, -0.5, v4, v16
	v_fma_f32 v16, -0.5, v25, v16
	;; [unrolled: 1-line block ×3, first 2 shown]
	v_add_f32_e32 v29, v41, v42
	v_add_f32_e32 v41, v102, v103
	v_sub_f32_e32 v102, v89, v3
	v_sub_f32_e32 v103, v0, v93
	v_fmac_f32_e32 v79, v113, v101
	v_sub_f32_e32 v6, v57, v58
	v_sub_f32_e32 v30, v18, v45
	;; [unrolled: 1-line block ×4, first 2 shown]
	v_add_f32_e32 v101, v95, v98
	v_add_f32_e32 v4, v28, v55
	;; [unrolled: 1-line block ×4, first 2 shown]
	v_fma_f32 v39, -0.5, v44, v23
	v_add_f32_e32 v42, v104, v91
	v_fma_f32 v43, -0.5, v105, v24
	v_add_f32_e32 v44, v108, v109
	v_add_f32_e32 v27, v13, v27
	;; [unrolled: 1-line block ×4, first 2 shown]
	v_sub_f32_e32 v105, v3, v89
	v_sub_f32_e32 v108, v93, v0
	;; [unrolled: 1-line block ×4, first 2 shown]
	v_add_f32_e32 v110, v90, v97
	v_fmac_f32_e32 v17, -0.5, v40
	v_add_f32_e32 v102, v102, v103
	v_fmamk_f32 v103, v5, 0x3f737871, v111
	v_fmac_f32_e32 v111, 0xbf737871, v5
	v_sub_f32_e32 v68, v85, v86
	v_add_f32_e32 v40, v99, v100
	v_fma_f32 v23, -0.5, v101, v23
	v_add_f32_e32 v99, v12, v89
	v_fma_f32 v13, -0.5, v13, v12
	v_fmac_f32_e32 v12, -0.5, v104
	v_fmamk_f32 v104, v6, 0xbf737871, v16
	v_fmac_f32_e32 v16, 0x3f737871, v6
	v_add_f32_e32 v105, v105, v108
	v_fmamk_f32 v108, v30, 0x3f737871, v25
	v_fmac_f32_e32 v25, 0xbf737871, v30
	v_sub_f32_e32 v106, v79, v82
	v_sub_f32_e32 v107, v80, v81
	v_fmac_f32_e32 v24, -0.5, v110
	v_fmac_f32_e32 v103, 0x3f167918, v6
	v_fmac_f32_e32 v111, 0xbf167918, v6
	v_fmamk_f32 v6, v37, 0xbf737871, v17
	v_fmac_f32_e32 v17, 0x3f737871, v37
	v_fmamk_f32 v109, v67, 0x3f737871, v39
	v_fmac_f32_e32 v39, 0xbf737871, v67
	v_add_f32_e32 v2, v2, v70
	v_sub_f32_e32 v100, v35, v1
	v_sub_f32_e32 v101, v36, v83
	v_add_f32_e32 v4, v4, v88
	v_fmac_f32_e32 v104, 0x3f167918, v5
	v_fmac_f32_e32 v16, 0xbf167918, v5
	;; [unrolled: 1-line block ×4, first 2 shown]
	v_fmamk_f32 v37, v68, 0xbf737871, v23
	v_fmac_f32_e32 v23, 0x3f737871, v68
	v_add_f32_e32 v5, v42, v92
	v_fmac_f32_e32 v6, 0x3f167918, v30
	v_fmac_f32_e32 v17, 0xbf167918, v30
	v_fmamk_f32 v30, v106, 0x3f737871, v43
	v_fmac_f32_e32 v43, 0xbf737871, v106
	v_fmac_f32_e32 v109, 0x3f167918, v68
	;; [unrolled: 1-line block ×3, first 2 shown]
	v_fmamk_f32 v42, v107, 0xbf737871, v24
	v_fmac_f32_e32 v24, 0x3f737871, v107
	v_add_f32_e32 v68, v99, v3
	v_add_f32_e32 v2, v2, v72
	;; [unrolled: 1-line block ×3, first 2 shown]
	v_fmac_f32_e32 v37, 0x3f167918, v67
	v_fmac_f32_e32 v23, 0xbf167918, v67
	v_add_f32_e32 v67, v5, v97
	v_fmamk_f32 v4, v100, 0x3f737871, v13
	v_fmac_f32_e32 v13, 0xbf737871, v100
	v_fmamk_f32 v5, v101, 0xbf737871, v12
	v_fmac_f32_e32 v12, 0x3f737871, v101
	v_add_f32_e32 v38, v38, v96
	v_fmac_f32_e32 v30, 0x3f167918, v107
	v_fmac_f32_e32 v43, 0xbf167918, v107
	;; [unrolled: 1-line block ×4, first 2 shown]
	v_add_f32_e32 v68, v68, v93
	v_add_f32_e32 v2, v2, v76
	v_fmac_f32_e32 v103, 0x3e9e377a, v7
	v_fmac_f32_e32 v4, 0x3f167918, v101
	;; [unrolled: 1-line block ×9, first 2 shown]
	v_add_f32_e32 v38, v38, v98
	v_fmac_f32_e32 v25, 0x3e9e377a, v28
	v_fmac_f32_e32 v6, 0x3e9e377a, v29
	;; [unrolled: 1-line block ×10, first 2 shown]
	v_add_f32_e32 v7, v68, v0
	s_barrier
	buffer_gl0_inv
	v_fmac_f32_e32 v109, 0x3e9e377a, v40
	v_fmac_f32_e32 v4, 0x3e9e377a, v102
	;; [unrolled: 1-line block ×5, first 2 shown]
	ds_write2_b32 v74, v2, v103 offset1:9
	ds_write2_b32 v74, v104, v16 offset0:18 offset1:27
	ds_write_b32 v74, v111 offset:144
	ds_write2_b32 v75, v99, v108 offset1:9
	ds_write2_b32 v75, v6, v17 offset0:18 offset1:27
	ds_write_b32 v75, v25 offset:144
	ds_write2_b32 v73, v38, v109 offset1:9
	ds_write2_b32 v73, v37, v23 offset0:18 offset1:27
	ds_write_b32 v73, v39 offset:144
	ds_write2_b32 v71, v67, v30 offset1:9
	ds_write2_b32 v71, v42, v24 offset0:18 offset1:27
	ds_write_b32 v71, v43 offset:144
	ds_write2_b32 v77, v7, v4 offset1:9
	ds_write2_b32 v77, v5, v12 offset0:18 offset1:27
	ds_write_b32 v77, v13 offset:144
	s_waitcnt lgkmcnt(0)
	s_barrier
	buffer_gl0_inv
	ds_read2_b32 v[16:17], v78 offset1:63
	ds_read2_b32 v[6:7], v78 offset0:126 offset1:225
	ds_read2_b32 v[43:44], v53 offset0:66 offset1:129
	;; [unrolled: 1-line block ×9, first 2 shown]
	ds_read_b32 v67, v78 offset:5904
                                        ; implicit-def: $vgpr68
	s_and_saveexec_b32 s1, s0
	s_cbranch_execz .LBB0_27
; %bb.26:
	v_add_nc_u32_e32 v2, 0x280, v78
	v_add_nc_u32_e32 v8, 0x9c0, v78
	;; [unrolled: 1-line block ×3, first 2 shown]
	ds_read2_b32 v[4:5], v2 offset0:29 offset1:254
	ds_read2_b32 v[12:13], v8 offset0:15 offset1:240
	;; [unrolled: 1-line block ×3, first 2 shown]
	ds_read_b32 v68, v78 offset:6156
.LBB0_27:
	s_or_b32 exec_lo, exec_lo, s1
	v_add_f32_e32 v2, v57, v58
	v_add_f32_e32 v47, v19, v56
	v_sub_f32_e32 v48, v69, v76
	v_sub_f32_e32 v49, v70, v72
	;; [unrolled: 1-line block ×3, first 2 shown]
	v_fma_f32 v2, -0.5, v2, v19
	v_add_f32_e32 v47, v47, v57
	v_sub_f32_e32 v51, v54, v58
	v_add_f32_e32 v52, v56, v54
	v_sub_f32_e32 v53, v57, v56
	v_fmamk_f32 v56, v48, 0xbf737871, v2
	v_add_f32_e32 v47, v47, v58
	v_fmac_f32_e32 v2, 0x3f737871, v48
	v_sub_f32_e32 v57, v58, v54
	v_fma_f32 v52, -0.5, v52, v19
	v_add_f32_e32 v19, v50, v51
	v_fmac_f32_e32 v56, 0xbf167918, v49
	v_add_f32_e32 v47, v47, v54
	v_fmac_f32_e32 v2, 0x3f167918, v49
	v_add_f32_e32 v54, v20, v18
	v_fmamk_f32 v50, v49, 0x3f737871, v52
	v_add_f32_e32 v51, v15, v46
	v_fmac_f32_e32 v56, 0x3e9e377a, v19
	v_fmac_f32_e32 v2, 0x3e9e377a, v19
	;; [unrolled: 1-line block ×3, first 2 shown]
	v_add_f32_e32 v19, v54, v15
	v_fmac_f32_e32 v50, 0xbf167918, v48
	v_add_f32_e32 v53, v53, v57
	v_fma_f32 v51, -0.5, v51, v20
	v_sub_f32_e32 v57, v59, v60
	v_add_f32_e32 v59, v18, v45
	v_fmac_f32_e32 v52, 0x3f167918, v48
	v_add_f32_e32 v19, v19, v46
	v_fmac_f32_e32 v50, 0x3e9e377a, v53
	v_fmamk_f32 v49, v57, 0xbf737871, v51
	v_sub_f32_e32 v54, v55, v88
	v_sub_f32_e32 v55, v18, v15
	;; [unrolled: 1-line block ×3, first 2 shown]
	v_fmac_f32_e32 v20, -0.5, v59
	v_fmac_f32_e32 v52, 0x3e9e377a, v53
	v_add_f32_e32 v53, v19, v45
	v_fmac_f32_e32 v51, 0x3f737871, v57
	v_sub_f32_e32 v15, v15, v18
	v_sub_f32_e32 v18, v46, v45
	v_add_f32_e32 v19, v21, v84
	v_fmac_f32_e32 v49, 0xbf167918, v54
	v_add_f32_e32 v48, v55, v58
	v_fmamk_f32 v55, v54, 0x3f737871, v20
	v_fmac_f32_e32 v51, 0x3f167918, v54
	v_add_f32_e32 v45, v85, v86
	v_add_f32_e32 v15, v15, v18
	v_fmac_f32_e32 v20, 0xbf737871, v54
	v_add_f32_e32 v18, v19, v85
	v_fmac_f32_e32 v49, 0x3e9e377a, v48
	v_fmac_f32_e32 v55, 0xbf167918, v57
	v_fma_f32 v45, -0.5, v45, v21
	v_sub_f32_e32 v19, v95, v98
	v_fmac_f32_e32 v51, 0x3e9e377a, v48
	v_fmac_f32_e32 v20, 0x3f167918, v57
	v_add_f32_e32 v18, v18, v86
	v_add_f32_e32 v48, v84, v87
	v_sub_f32_e32 v57, v84, v85
	v_sub_f32_e32 v58, v87, v86
	v_fmac_f32_e32 v55, 0x3e9e377a, v15
	v_fmamk_f32 v46, v19, 0xbf737871, v45
	v_sub_f32_e32 v54, v94, v96
	v_fmac_f32_e32 v20, 0x3e9e377a, v15
	v_fma_f32 v21, -0.5, v48, v21
	v_add_f32_e32 v48, v18, v87
	v_add_f32_e32 v15, v57, v58
	v_fmac_f32_e32 v45, 0x3f737871, v19
	v_sub_f32_e32 v18, v85, v84
	v_sub_f32_e32 v58, v86, v87
	v_add_f32_e32 v59, v80, v81
	v_fmac_f32_e32 v46, 0xbf167918, v54
	v_fmamk_f32 v57, v54, 0x3f737871, v21
	v_fmac_f32_e32 v45, 0x3f167918, v54
	v_add_f32_e32 v18, v18, v58
	v_fmac_f32_e32 v21, 0xbf737871, v54
	v_add_f32_e32 v54, v22, v79
	v_fma_f32 v58, -0.5, v59, v22
	v_sub_f32_e32 v59, v90, v97
	v_fmac_f32_e32 v46, 0x3e9e377a, v15
	v_fmac_f32_e32 v57, 0xbf167918, v19
	;; [unrolled: 1-line block ×4, first 2 shown]
	v_add_f32_e32 v15, v54, v80
	v_fmamk_f32 v54, v59, 0xbf737871, v58
	v_sub_f32_e32 v19, v91, v92
	v_sub_f32_e32 v60, v79, v80
	;; [unrolled: 1-line block ×3, first 2 shown]
	v_fmac_f32_e32 v58, 0x3f737871, v59
	v_add_f32_e32 v70, v79, v82
	v_fmac_f32_e32 v54, 0xbf167918, v19
	v_add_f32_e32 v15, v15, v81
	v_add_f32_e32 v60, v60, v69
	v_fmac_f32_e32 v58, 0x3f167918, v19
	v_fmac_f32_e32 v22, -0.5, v70
	v_fmac_f32_e32 v57, 0x3e9e377a, v18
	v_fmac_f32_e32 v21, 0x3e9e377a, v18
	;; [unrolled: 1-line block ×4, first 2 shown]
	v_fmamk_f32 v60, v19, 0x3f737871, v22
	v_fmac_f32_e32 v22, 0xbf737871, v19
	v_add_f32_e32 v69, v15, v82
	v_add_f32_e32 v15, v36, v83
	v_sub_f32_e32 v18, v80, v79
	v_sub_f32_e32 v70, v81, v82
	v_add_f32_e32 v19, v14, v35
	v_fmac_f32_e32 v60, 0xbf167918, v59
	v_fmac_f32_e32 v22, 0x3f167918, v59
	v_add_f32_e32 v59, v35, v1
	v_fma_f32 v15, -0.5, v15, v14
	v_sub_f32_e32 v0, v89, v0
	v_add_f32_e32 v70, v18, v70
	v_add_f32_e32 v19, v19, v36
	v_sub_f32_e32 v3, v3, v93
	v_fmac_f32_e32 v14, -0.5, v59
	v_fmamk_f32 v18, v0, 0xbf737871, v15
	v_fmac_f32_e32 v60, 0x3e9e377a, v70
	v_fmac_f32_e32 v22, 0x3e9e377a, v70
	v_add_f32_e32 v70, v19, v83
	v_sub_f32_e32 v59, v35, v36
	v_sub_f32_e32 v72, v1, v83
	v_fmac_f32_e32 v15, 0x3f737871, v0
	v_fmamk_f32 v19, v3, 0x3f737871, v14
	v_sub_f32_e32 v35, v36, v35
	v_sub_f32_e32 v36, v83, v1
	v_fmac_f32_e32 v14, 0xbf737871, v3
	v_fmac_f32_e32 v18, 0xbf167918, v3
	v_add_f32_e32 v59, v59, v72
	v_fmac_f32_e32 v15, 0x3f167918, v3
	v_fmac_f32_e32 v19, 0xbf167918, v0
	v_add_f32_e32 v3, v35, v36
	v_fmac_f32_e32 v14, 0x3f167918, v0
	v_add_f32_e32 v0, v70, v1
	v_fmac_f32_e32 v18, 0x3e9e377a, v59
	v_fmac_f32_e32 v15, 0x3e9e377a, v59
	;; [unrolled: 1-line block ×4, first 2 shown]
	s_waitcnt lgkmcnt(0)
	s_barrier
	buffer_gl0_inv
	ds_write2_b32 v74, v47, v56 offset1:9
	ds_write2_b32 v74, v50, v52 offset0:18 offset1:27
	ds_write_b32 v74, v2 offset:144
	ds_write2_b32 v75, v53, v49 offset1:9
	ds_write2_b32 v75, v55, v20 offset0:18 offset1:27
	ds_write_b32 v75, v51 offset:144
	;; [unrolled: 3-line block ×5, first 2 shown]
	v_add_nc_u32_e32 v0, 0x600, v78
	v_add_nc_u32_e32 v1, 0x800, v78
	s_waitcnt lgkmcnt(0)
	s_barrier
	buffer_gl0_inv
	ds_read2_b32 v[35:36], v78 offset1:63
	ds_read2_b32 v[20:21], v78 offset0:126 offset1:225
	ds_read2_b32 v[59:60], v0 offset0:66 offset1:129
	;; [unrolled: 1-line block ×3, first 2 shown]
	v_add_nc_u32_e32 v0, 0xc00, v78
	v_add_nc_u32_e32 v1, 0x1000, v78
	;; [unrolled: 1-line block ×5, first 2 shown]
	ds_read2_b32 v[53:54], v0 offset0:132 offset1:195
	ds_read2_b32 v[47:48], v1 offset0:2 offset1:101
	;; [unrolled: 1-line block ×6, first 2 shown]
	ds_read_b32 v70, v78 offset:5904
                                        ; implicit-def: $vgpr69
	s_and_saveexec_b32 s1, s0
	s_cbranch_execz .LBB0_29
; %bb.28:
	v_add_nc_u32_e32 v0, 0x280, v78
	v_add_nc_u32_e32 v1, 0x9c0, v78
	;; [unrolled: 1-line block ×3, first 2 shown]
	ds_read2_b32 v[18:19], v0 offset0:29 offset1:254
	ds_read2_b32 v[14:15], v1 offset0:15 offset1:240
	ds_read2_b32 v[10:11], v2 offset0:1 offset1:226
	ds_read_b32 v69, v78 offset:6156
.LBB0_29:
	s_or_b32 exec_lo, exec_lo, s1
	v_mul_lo_u16 v0, 0x6d, v66
	v_subrev_nc_u32_e32 v1, 45, v34
	v_cmp_gt_u32_e64 s1, 45, v34
	v_mov_b32_e32 v66, 6
	v_mov_b32_e32 v105, 0x4ec
	v_lshrrev_b16 v2, 8, v0
	v_mov_b32_e32 v106, 2
	v_cndmask_b32_e64 v3, v1, v34, s1
	v_mov_b32_e32 v1, 0
	v_sub_nc_u16 v22, v31, v2
	v_mul_i32_i24_e32 v0, 6, v3
	v_lshlrev_b32_e32 v3, 2, v3
	v_lshrrev_b16 v22, 1, v22
	v_lshlrev_b64 v[0:1], 3, v[0:1]
	v_and_b32_e32 v22, 0x7f, v22
	v_add_co_u32 v0, s1, s8, v0
	v_add_nc_u16 v2, v22, v2
	v_add_co_ci_u32_e64 v1, s1, s9, v1, s1
	v_cmp_lt_u32_e64 s1, 44, v34
	v_lshrrev_b16 v2, 5, v2
	s_clause 0x2
	global_load_dwordx4 v[72:75], v[0:1], off offset:336
	global_load_dwordx4 v[79:82], v[0:1], off offset:352
	;; [unrolled: 1-line block ×3, first 2 shown]
	v_mul_lo_u16 v1, 0x6d, v65
	v_mul_lo_u16 v22, v2, 45
	v_mul_u32_u24_sdwa v107, v2, v105 dst_sel:DWORD dst_unused:UNUSED_PAD src0_sel:WORD_0 src1_sel:DWORD
	v_lshrrev_b16 v1, 8, v1
	v_sub_nc_u16 v77, v31, v22
	v_sub_nc_u16 v22, v62, v1
	v_mul_u32_u24_sdwa v0, v77, v66 dst_sel:DWORD dst_unused:UNUSED_PAD src0_sel:BYTE_0 src1_sel:DWORD
	v_lshrrev_b16 v22, 1, v22
	v_lshlrev_b32_e32 v0, 3, v0
	v_and_b32_e32 v22, 0x7f, v22
	s_clause 0x1
	global_load_dwordx4 v[87:90], v0, s[8:9] offset:336
	global_load_dwordx4 v[95:98], v0, s[8:9] offset:352
	v_add_nc_u16 v1, v22, v1
	v_lshrrev_b16 v103, 5, v1
	v_mul_lo_u16 v1, v103, 45
	v_sub_nc_u16 v104, v62, v1
	v_mul_u32_u24_sdwa v1, v104, v66 dst_sel:DWORD dst_unused:UNUSED_PAD src0_sel:BYTE_0 src1_sel:DWORD
	v_lshlrev_b32_e32 v76, 3, v1
	v_mul_lo_u16 v1, 0x6d, v64
	global_load_dwordx4 v[91:94], v76, s[8:9] offset:336
	v_lshrrev_b16 v1, 8, v1
	v_sub_nc_u16 v22, v63, v1
	v_lshrrev_b16 v22, 1, v22
	v_and_b32_e32 v22, 0x7f, v22
	v_add_nc_u16 v1, v22, v1
	v_cndmask_b32_e64 v22, 0, 0x4ec, s1
	v_lshrrev_b16 v1, 5, v1
	v_add3_u32 v22, 0, v22, v3
	v_mul_lo_u16 v1, v1, 45
	v_sub_nc_u16 v1, v63, v1
	v_and_b32_e32 v108, 0xff, v1
	s_clause 0x1
	global_load_dwordx4 v[99:102], v0, s[8:9] offset:368
	global_load_dwordx4 v[0:3], v76, s[8:9] offset:352
	s_waitcnt vmcnt(7) lgkmcnt(9)
	v_mul_f32_e32 v109, v21, v73
	v_mul_f32_e32 v65, v7, v73
	s_waitcnt lgkmcnt(8)
	v_mul_f32_e32 v110, v59, v75
	v_mul_f32_e32 v66, v43, v75
	s_waitcnt vmcnt(6) lgkmcnt(7)
	v_mul_f32_e32 v75, v56, v80
	v_mul_f32_e32 v64, v40, v80
	s_waitcnt lgkmcnt(6)
	v_mul_f32_e32 v80, v53, v82
	v_mul_f32_e32 v71, v37, v82
	v_fma_f32 v73, v7, v72, -v109
	v_fmac_f32_e32 v65, v21, v72
	s_waitcnt vmcnt(5) lgkmcnt(5)
	v_mul_f32_e32 v7, v48, v84
	v_fmac_f32_e32 v64, v56, v79
	v_fma_f32 v56, v37, v81, -v80
	s_waitcnt lgkmcnt(4)
	v_mul_f32_e32 v21, v51, v86
	v_mul_u32_u24_e32 v37, 6, v108
	v_fmac_f32_e32 v71, v53, v81
	v_mul_f32_e32 v53, v26, v84
	v_fma_f32 v72, v43, v74, -v110
	v_fmac_f32_e32 v66, v59, v74
	v_fma_f32 v59, v40, v79, -v75
	global_load_dwordx4 v[79:82], v76, s[8:9] offset:368
	v_mul_f32_e32 v75, v29, v86
	v_fma_f32 v74, v26, v83, -v7
	v_fma_f32 v76, v29, v85, -v21
	s_waitcnt vmcnt(5)
	v_mul_f32_e32 v7, v60, v90
	v_lshlrev_b32_e32 v21, 3, v37
	v_fmac_f32_e32 v53, v48, v83
	v_mul_f32_e32 v40, v44, v90
	s_waitcnt lgkmcnt(3)
	v_mul_f32_e32 v26, v57, v88
	v_mul_f32_e32 v48, v41, v88
	v_fmac_f32_e32 v75, v51, v85
	v_fma_f32 v43, v44, v89, -v7
	global_load_dwordx4 v[83:86], v21, s[8:9] offset:336
	v_lshlrev_b32_sdwa v7, v106, v77 dst_sel:DWORD dst_unused:UNUSED_PAD src0_sel:DWORD src1_sel:BYTE_0
	v_mul_u32_u24_sdwa v29, v103, v105 dst_sel:DWORD dst_unused:UNUSED_PAD src0_sel:WORD_0 src1_sel:DWORD
	v_lshlrev_b32_sdwa v37, v106, v104 dst_sel:DWORD dst_unused:UNUSED_PAD src0_sel:DWORD src1_sel:BYTE_0
	global_load_dwordx4 v[103:106], v21, s[8:9] offset:368
	v_fmac_f32_e32 v40, v60, v89
	v_fma_f32 v44, v41, v87, -v26
	v_fmac_f32_e32 v48, v57, v87
	global_load_dwordx4 v[87:90], v21, s[8:9] offset:352
	v_add3_u32 v21, 0, v29, v37
	v_add_f32_e32 v51, v73, v76
	v_sub_f32_e32 v60, v71, v64
	v_sub_f32_e32 v57, v65, v75
	s_waitcnt vmcnt(0) lgkmcnt(0)
	s_barrier
	buffer_gl0_inv
	v_add3_u32 v26, 0, v107, v7
	v_lshl_add_u32 v7, v108, 2, 0
	v_mul_f32_e32 v29, v58, v92
	v_mul_f32_e32 v37, v42, v92
	;; [unrolled: 1-line block ×4, first 2 shown]
	v_fma_f32 v29, v42, v91, -v29
	v_mul_f32_e32 v42, v55, v94
	v_fmac_f32_e32 v37, v58, v91
	v_fmac_f32_e32 v41, v55, v93
	v_sub_f32_e32 v55, v66, v53
	v_add_f32_e32 v58, v59, v56
	v_fma_f32 v39, v39, v93, -v42
	v_add_f32_e32 v42, v72, v74
	v_sub_f32_e32 v93, v51, v58
	v_add_f32_e32 v77, v42, v51
	v_sub_f32_e32 v91, v42, v51
	v_add_f32_e32 v51, v60, v55
	v_sub_f32_e32 v94, v58, v42
	v_fma_f32 v42, v38, v97, -v92
	v_add_f32_e32 v77, v58, v77
	v_sub_f32_e32 v58, v60, v55
	v_mul_f32_e32 v38, v38, v98
	v_sub_f32_e32 v60, v57, v60
	v_sub_f32_e32 v55, v55, v57
	v_add_f32_e32 v92, v51, v57
	v_mul_f32_e32 v57, v49, v96
	v_mul_f32_e32 v51, v27, v96
	;; [unrolled: 1-line block ×5, first 2 shown]
	v_fmac_f32_e32 v38, v54, v97
	v_fma_f32 v54, v27, v95, -v57
	v_fmac_f32_e32 v51, v49, v95
	v_mul_f32_e32 v27, 0x3f5ff5aa, v55
	v_add_f32_e32 v95, v16, v77
	v_fmamk_f32 v94, v94, 0x3d64c772, v93
	v_fma_f32 v96, 0x3f3bfb3b, v91, -v96
	v_fma_f32 v91, 0xbf3bfb3b, v91, -v93
	v_mul_f32_e32 v16, v52, v102
	v_fmamk_f32 v93, v60, 0x3eae86e6, v58
	v_fma_f32 v97, 0x3f5ff5aa, v55, -v58
	v_mul_f32_e32 v49, v45, v100
	v_mul_f32_e32 v58, v30, v102
	;; [unrolled: 1-line block ×3, first 2 shown]
	v_fma_f32 v60, 0xbeae86e6, v60, -v27
	v_fma_f32 v57, v30, v101, -v16
	v_mul_f32_e32 v16, v50, v1
	v_mul_f32_e32 v27, v28, v1
	;; [unrolled: 1-line block ×4, first 2 shown]
	v_fmac_f32_e32 v58, v52, v101
	v_fma_f32 v52, v23, v99, -v49
	v_fmac_f32_e32 v55, v45, v99
	v_fmamk_f32 v77, v77, 0xbf955555, v95
	v_fma_f32 v28, v28, v0, -v16
	v_fma_f32 v25, v25, v2, -v1
	v_fmac_f32_e32 v30, v47, v2
	v_fmac_f32_e32 v27, v50, v0
	;; [unrolled: 1-line block ×5, first 2 shown]
	v_mul_f32_e32 v3, v46, v80
	v_mul_f32_e32 v45, v24, v80
	;; [unrolled: 1-line block ×4, first 2 shown]
	v_add_f32_e32 v82, v96, v77
	v_fma_f32 v47, v24, v79, -v3
	v_fmac_f32_e32 v45, v46, v79
	v_fma_f32 v46, v67, v81, -v23
	v_fmac_f32_e32 v49, v70, v81
	v_add_f32_e32 v81, v94, v77
	v_add_f32_e32 v77, v91, v77
	v_mul_f32_e32 v2, v12, v86
	v_mul_f32_e32 v24, v19, v84
	;; [unrolled: 1-line block ×7, first 2 shown]
	v_fmac_f32_e32 v2, v14, v85
	v_mul_f32_e32 v67, v15, v88
	v_mul_f32_e32 v0, v13, v88
	v_fmac_f32_e32 v16, v11, v103
	v_add_f32_e32 v11, v44, v57
	v_add_f32_e32 v14, v43, v52
	v_mul_f32_e32 v70, v10, v90
	v_mul_f32_e32 v3, v8, v90
	;; [unrolled: 1-line block ×3, first 2 shown]
	v_fma_f32 v24, v5, v83, -v24
	v_fma_f32 v5, v12, v85, -v50
	;; [unrolled: 1-line block ×3, first 2 shown]
	v_fmac_f32_e32 v0, v15, v87
	v_fmac_f32_e32 v23, v69, v105
	v_sub_f32_e32 v13, v48, v58
	v_sub_f32_e32 v15, v40, v55
	;; [unrolled: 1-line block ×3, first 2 shown]
	v_add_f32_e32 v67, v29, v46
	v_add_f32_e32 v69, v39, v47
	v_fmac_f32_e32 v1, v19, v83
	v_add_f32_e32 v19, v54, v42
	v_add_f32_e32 v83, v93, v81
	;; [unrolled: 1-line block ×3, first 2 shown]
	v_sub_f32_e32 v60, v77, v60
	v_sub_f32_e32 v77, v81, v93
	v_add_f32_e32 v81, v14, v11
	v_fma_f32 v8, v8, v89, -v70
	v_fmac_f32_e32 v3, v10, v89
	v_fma_f32 v9, v9, v103, -v79
	v_fma_f32 v10, v68, v105, -v80
	v_sub_f32_e32 v70, v41, v45
	v_add_f32_e32 v79, v28, v25
	v_sub_f32_e32 v80, v30, v27
	v_add_f32_e32 v87, v50, v15
	v_sub_f32_e32 v88, v50, v15
	v_sub_f32_e32 v15, v15, v13
	v_add_f32_e32 v89, v69, v67
	v_sub_f32_e32 v68, v37, v49
	v_sub_f32_e32 v85, v82, v97
	;; [unrolled: 1-line block ×5, first 2 shown]
	v_add_f32_e32 v19, v19, v81
	v_add_f32_e32 v82, v97, v82
	v_sub_f32_e32 v50, v13, v50
	v_sub_f32_e32 v90, v69, v67
	;; [unrolled: 1-line block ×5, first 2 shown]
	ds_write2_b32 v22, v95, v83 offset1:45
	ds_write2_b32 v22, v84, v85 offset0:90 offset1:135
	ds_write2_b32 v22, v82, v60 offset0:180 offset1:225
	ds_write_b32 v22, v77 offset:1080
	v_mul_f32_e32 v77, 0xbf08b237, v88
	v_mul_f32_e32 v81, 0x3f5ff5aa, v15
	v_add_f32_e32 v79, v79, v89
	v_add_f32_e32 v91, v80, v70
	v_sub_f32_e32 v70, v70, v68
	v_mul_f32_e32 v11, 0x3f4a47b2, v11
	v_add_f32_e32 v17, v17, v19
	v_mul_f32_e32 v60, 0x3d64c772, v14
	v_sub_f32_e32 v80, v68, v80
	v_add_f32_e32 v13, v87, v13
	v_mul_f32_e32 v67, 0x3f4a47b2, v67
	v_mul_f32_e32 v83, 0xbf08b237, v92
	v_fmamk_f32 v85, v50, 0x3eae86e6, v77
	v_fma_f32 v15, 0x3f5ff5aa, v15, -v77
	v_fma_f32 v50, 0xbeae86e6, v50, -v81
	v_add_f32_e32 v6, v6, v79
	v_mul_f32_e32 v82, 0x3d64c772, v69
	v_mul_f32_e32 v84, 0x3f5ff5aa, v70
	v_fmamk_f32 v14, v14, 0x3d64c772, v11
	v_fmamk_f32 v19, v19, 0xbf955555, v17
	v_fma_f32 v60, 0x3f3bfb3b, v86, -v60
	v_fma_f32 v11, 0xbf3bfb3b, v86, -v11
	v_add_f32_e32 v68, v91, v68
	v_fmamk_f32 v69, v69, 0x3d64c772, v67
	v_fmamk_f32 v81, v80, 0x3eae86e6, v83
	v_fmac_f32_e32 v85, 0x3ee1c552, v13
	v_fmac_f32_e32 v15, 0x3ee1c552, v13
	;; [unrolled: 1-line block ×3, first 2 shown]
	v_fmamk_f32 v13, v79, 0xbf955555, v6
	v_fma_f32 v77, 0x3f3bfb3b, v90, -v82
	v_fma_f32 v67, 0xbf3bfb3b, v90, -v67
	;; [unrolled: 1-line block ×4, first 2 shown]
	v_add_f32_e32 v14, v14, v19
	v_add_f32_e32 v60, v60, v19
	;; [unrolled: 1-line block ×3, first 2 shown]
	v_fmac_f32_e32 v81, 0x3ee1c552, v68
	v_add_f32_e32 v19, v69, v13
	v_fmac_f32_e32 v70, 0x3ee1c552, v68
	v_fmac_f32_e32 v80, 0x3ee1c552, v68
	v_add_f32_e32 v68, v77, v13
	v_add_f32_e32 v13, v67, v13
	;; [unrolled: 1-line block ×4, first 2 shown]
	v_sub_f32_e32 v77, v60, v15
	v_add_f32_e32 v15, v15, v60
	v_sub_f32_e32 v11, v11, v50
	v_sub_f32_e32 v14, v14, v85
	v_add_f32_e32 v50, v81, v19
	v_add_f32_e32 v60, v80, v13
	v_sub_f32_e32 v79, v68, v70
	v_add_f32_e32 v68, v70, v68
	v_sub_f32_e32 v13, v13, v80
	v_sub_f32_e32 v19, v19, v81
	ds_write2_b32 v26, v17, v67 offset1:45
	ds_write2_b32 v26, v69, v77 offset0:90 offset1:135
	ds_write2_b32 v26, v15, v11 offset0:180 offset1:225
	ds_write_b32 v26, v14 offset:1080
	ds_write2_b32 v21, v6, v50 offset1:45
	ds_write2_b32 v21, v60, v79 offset0:90 offset1:135
	ds_write2_b32 v21, v68, v13 offset0:180 offset1:225
	ds_write_b32 v21, v19 offset:1080
	s_and_saveexec_b32 s1, s0
	s_cbranch_execz .LBB0_31
; %bb.30:
	v_add_f32_e32 v6, v24, v10
	v_add_f32_e32 v13, v5, v9
	;; [unrolled: 1-line block ×3, first 2 shown]
	v_sub_f32_e32 v14, v3, v0
	v_sub_f32_e32 v19, v2, v16
	;; [unrolled: 1-line block ×3, first 2 shown]
	v_add_f32_e32 v17, v13, v6
	v_sub_f32_e32 v15, v6, v11
	v_sub_f32_e32 v60, v11, v13
	v_sub_f32_e32 v6, v13, v6
	v_sub_f32_e32 v67, v19, v50
	v_add_f32_e32 v11, v11, v17
	v_sub_f32_e32 v17, v14, v19
	v_mul_f32_e32 v15, 0x3f4a47b2, v15
	v_mul_f32_e32 v68, 0x3d64c772, v60
	v_sub_f32_e32 v69, v50, v14
	v_add_f32_e32 v4, v4, v11
	v_add_f32_e32 v14, v14, v19
	v_mul_f32_e32 v13, 0x3f5ff5aa, v67
	v_mul_f32_e32 v17, 0xbf08b237, v17
	v_fmamk_f32 v60, v60, 0x3d64c772, v15
	v_fmamk_f32 v11, v11, 0xbf955555, v4
	v_add_f32_e32 v14, v14, v50
	v_fma_f32 v15, 0xbf3bfb3b, v6, -v15
	v_fma_f32 v13, 0xbeae86e6, v69, -v13
	;; [unrolled: 1-line block ×4, first 2 shown]
	v_fmamk_f32 v17, v69, 0x3eae86e6, v17
	v_add_f32_e32 v15, v15, v11
	v_fmac_f32_e32 v13, 0x3ee1c552, v14
	v_fmac_f32_e32 v19, 0x3ee1c552, v14
	v_add_f32_e32 v6, v6, v11
	v_add_f32_e32 v11, v60, v11
	v_fmac_f32_e32 v17, 0x3ee1c552, v14
	v_sub_f32_e32 v14, v15, v13
	v_add_f32_e32 v13, v13, v15
	v_add_nc_u32_e32 v60, 0x1200, v7
	v_sub_f32_e32 v50, v6, v19
	v_add_f32_e32 v15, v17, v11
	v_add_nc_u32_e32 v67, 0x1400, v7
	v_add_f32_e32 v6, v19, v6
	v_sub_f32_e32 v11, v11, v17
	ds_write2_b32 v60, v4, v15 offset0:108 offset1:153
	ds_write2_b32 v67, v13, v50 offset0:70 offset1:115
	;; [unrolled: 1-line block ×3, first 2 shown]
	ds_write_b32 v7, v11 offset:6120
.LBB0_31:
	s_or_b32 exec_lo, exec_lo, s1
	v_add_f32_e32 v4, v65, v75
	v_add_f32_e32 v6, v66, v53
	;; [unrolled: 1-line block ×3, first 2 shown]
	v_sub_f32_e32 v14, v72, v74
	v_sub_f32_e32 v15, v56, v59
	;; [unrolled: 1-line block ×3, first 2 shown]
	v_add_f32_e32 v17, v6, v4
	v_sub_f32_e32 v19, v6, v4
	v_sub_f32_e32 v4, v4, v13
	v_sub_f32_e32 v6, v13, v6
	v_add_f32_e32 v50, v15, v14
	v_add_f32_e32 v13, v13, v17
	v_sub_f32_e32 v17, v15, v14
	v_sub_f32_e32 v15, v11, v15
	;; [unrolled: 1-line block ×3, first 2 shown]
	v_add_f32_e32 v11, v50, v11
	v_add_f32_e32 v35, v35, v13
	v_mul_f32_e32 v50, 0x3d64c772, v6
	v_mul_f32_e32 v17, 0xbf08b237, v17
	;; [unrolled: 1-line block ×4, first 2 shown]
	v_fmamk_f32 v13, v13, 0xbf955555, v35
	v_fma_f32 v50, 0x3f3bfb3b, v19, -v50
	v_fma_f32 v14, 0x3f5ff5aa, v14, -v17
	v_fmamk_f32 v6, v6, 0x3d64c772, v4
	v_fma_f32 v4, 0xbf3bfb3b, v19, -v4
	v_fmamk_f32 v19, v15, 0x3eae86e6, v17
	v_add_f32_e32 v17, v50, v13
	v_fmac_f32_e32 v14, 0x3ee1c552, v11
	v_add_f32_e32 v40, v40, v55
	v_add_f32_e32 v38, v51, v38
	v_sub_f32_e32 v43, v43, v52
	v_sub_f32_e32 v42, v42, v54
	v_add_f32_e32 v65, v14, v17
	v_sub_f32_e32 v14, v17, v14
	v_add_f32_e32 v17, v48, v58
	;; [unrolled: 2-line block ×3, first 2 shown]
	v_add_f32_e32 v37, v37, v49
	v_add_f32_e32 v27, v27, v30
	;; [unrolled: 1-line block ×3, first 2 shown]
	v_sub_f32_e32 v50, v40, v17
	v_sub_f32_e32 v17, v17, v38
	v_sub_f32_e32 v40, v38, v40
	v_sub_f32_e32 v30, v39, v47
	v_add_f32_e32 v38, v38, v48
	v_sub_f32_e32 v48, v42, v43
	v_sub_f32_e32 v42, v44, v42
	;; [unrolled: 1-line block ×3, first 2 shown]
	v_add_f32_e32 v44, v51, v44
	v_add_f32_e32 v36, v36, v38
	v_mul_f32_e32 v17, 0x3f4a47b2, v17
	v_mul_f32_e32 v51, 0x3d64c772, v40
	;; [unrolled: 1-line block ×4, first 2 shown]
	v_fmamk_f32 v38, v38, 0xbf955555, v36
	v_fmamk_f32 v40, v40, 0x3d64c772, v17
	v_fma_f32 v51, 0x3f3bfb3b, v50, -v51
	v_fma_f32 v17, 0xbf3bfb3b, v50, -v17
	v_fmamk_f32 v50, v42, 0x3eae86e6, v48
	v_fma_f32 v43, 0x3f5ff5aa, v43, -v48
	v_add_f32_e32 v40, v40, v38
	v_add_f32_e32 v48, v51, v38
	;; [unrolled: 1-line block ×4, first 2 shown]
	v_sub_f32_e32 v25, v25, v28
	v_sub_f32_e32 v29, v29, v46
	v_fma_f32 v42, 0xbeae86e6, v42, -v52
	v_fma_f32 v15, 0xbeae86e6, v15, -v53
	v_add_f32_e32 v28, v38, v37
	v_sub_f32_e32 v39, v38, v37
	v_sub_f32_e32 v37, v37, v27
	;; [unrolled: 1-line block ×3, first 2 shown]
	v_add_f32_e32 v41, v25, v30
	v_add_f32_e32 v27, v27, v28
	v_sub_f32_e32 v28, v25, v30
	v_sub_f32_e32 v25, v29, v25
	;; [unrolled: 1-line block ×3, first 2 shown]
	v_add_f32_e32 v29, v41, v29
	v_add_f32_e32 v20, v20, v27
	v_mul_f32_e32 v37, 0x3f4a47b2, v37
	v_mul_f32_e32 v41, 0x3d64c772, v38
	v_add_f32_e32 v6, v6, v13
	v_fmac_f32_e32 v19, 0x3ee1c552, v11
	v_fmac_f32_e32 v42, 0x3ee1c552, v44
	v_mul_f32_e32 v28, 0xbf08b237, v28
	v_fmamk_f32 v27, v27, 0xbf955555, v20
	v_fmamk_f32 v38, v38, 0x3d64c772, v37
	v_fma_f32 v41, 0x3f3bfb3b, v39, -v41
	v_fma_f32 v37, 0xbf3bfb3b, v39, -v37
	v_fmac_f32_e32 v43, 0x3ee1c552, v44
	v_add_f32_e32 v4, v4, v13
	v_fmac_f32_e32 v15, 0x3ee1c552, v11
	v_sub_f32_e32 v11, v6, v19
	v_fmac_f32_e32 v50, 0x3ee1c552, v44
	v_add_f32_e32 v6, v19, v6
	v_sub_f32_e32 v19, v17, v42
	v_add_f32_e32 v17, v42, v17
	v_mul_f32_e32 v42, 0x3f5ff5aa, v30
	v_fmamk_f32 v68, v25, 0x3eae86e6, v28
	v_fma_f32 v28, 0x3f5ff5aa, v30, -v28
	v_add_f32_e32 v30, v38, v27
	v_add_f32_e32 v69, v37, v27
	;; [unrolled: 1-line block ×3, first 2 shown]
	v_add_nc_u32_e32 v41, 0x800, v78
	v_add_f32_e32 v66, v43, v48
	v_sub_f32_e32 v67, v48, v43
	v_add_nc_u32_e32 v39, 0x200, v78
	v_add_nc_u32_e32 v43, 0xc00, v78
	;; [unrolled: 1-line block ×9, first 2 shown]
	v_sub_f32_e32 v13, v4, v15
	v_add_f32_e32 v4, v15, v4
	v_sub_f32_e32 v15, v40, v50
	v_fma_f32 v25, 0xbeae86e6, v25, -v42
	v_add_f32_e32 v70, v50, v40
	s_waitcnt lgkmcnt(0)
	s_barrier
	buffer_gl0_inv
	ds_read2_b32 v[37:38], v78 offset1:63
	ds_read2_b32 v[39:40], v39 offset0:124 offset1:187
	ds_read2_b32 v[41:42], v41 offset0:118 offset1:181
	;; [unrolled: 1-line block ×11, first 2 shown]
	ds_read_b32 v64, v78 offset:6048
	v_fmac_f32_e32 v68, 0x3ee1c552, v29
	v_fmac_f32_e32 v25, 0x3ee1c552, v29
	;; [unrolled: 1-line block ×3, first 2 shown]
	s_waitcnt lgkmcnt(0)
	s_barrier
	v_sub_f32_e32 v29, v30, v68
	v_sub_f32_e32 v71, v69, v25
	v_add_f32_e32 v72, v28, v27
	v_sub_f32_e32 v27, v27, v28
	v_add_f32_e32 v25, v25, v69
	v_add_f32_e32 v28, v68, v30
	buffer_gl0_inv
	ds_write2_b32 v22, v35, v11 offset1:45
	ds_write2_b32 v22, v13, v65 offset0:90 offset1:135
	ds_write2_b32 v22, v14, v4 offset0:180 offset1:225
	ds_write_b32 v22, v6 offset:1080
	ds_write2_b32 v26, v36, v15 offset1:45
	ds_write2_b32 v26, v19, v66 offset0:90 offset1:135
	ds_write2_b32 v26, v67, v17 offset0:180 offset1:225
	ds_write_b32 v26, v70 offset:1080
	;; [unrolled: 4-line block ×3, first 2 shown]
	s_and_saveexec_b32 s1, s0
	s_cbranch_execz .LBB0_33
; %bb.32:
	v_add_f32_e32 v1, v1, v23
	v_add_f32_e32 v2, v2, v16
	;; [unrolled: 1-line block ×3, first 2 shown]
	v_sub_f32_e32 v3, v5, v9
	v_sub_f32_e32 v5, v8, v12
	;; [unrolled: 1-line block ×3, first 2 shown]
	v_add_f32_e32 v6, v2, v1
	v_sub_f32_e32 v8, v2, v1
	v_sub_f32_e32 v1, v1, v0
	;; [unrolled: 1-line block ×3, first 2 shown]
	v_add_f32_e32 v9, v5, v3
	v_add_f32_e32 v0, v0, v6
	v_sub_f32_e32 v6, v5, v3
	v_sub_f32_e32 v3, v3, v4
	;; [unrolled: 1-line block ×3, first 2 shown]
	v_add_f32_e32 v4, v9, v4
	v_add_f32_e32 v9, v18, v0
	v_mul_f32_e32 v1, 0x3f4a47b2, v1
	v_mul_f32_e32 v10, 0x3d64c772, v2
	;; [unrolled: 1-line block ×4, first 2 shown]
	v_fmamk_f32 v0, v0, 0xbf955555, v9
	v_fmamk_f32 v2, v2, 0x3d64c772, v1
	v_fma_f32 v10, 0x3f3bfb3b, v8, -v10
	v_fma_f32 v1, 0xbf3bfb3b, v8, -v1
	v_fmamk_f32 v8, v5, 0x3eae86e6, v6
	v_fma_f32 v3, 0x3f5ff5aa, v3, -v6
	v_fma_f32 v5, 0xbeae86e6, v5, -v11
	v_add_f32_e32 v2, v2, v0
	v_add_f32_e32 v6, v10, v0
	v_fmac_f32_e32 v8, 0x3ee1c552, v4
	v_fmac_f32_e32 v3, 0x3ee1c552, v4
	v_add_f32_e32 v0, v1, v0
	v_fmac_f32_e32 v5, 0x3ee1c552, v4
	v_add_nc_u32_e32 v11, 0x1400, v7
	v_sub_f32_e32 v1, v2, v8
	v_add_f32_e32 v10, v3, v6
	v_sub_f32_e32 v3, v6, v3
	v_add_nc_u32_e32 v6, 0x1200, v7
	v_sub_f32_e32 v4, v0, v5
	v_add_f32_e32 v0, v5, v0
	v_add_f32_e32 v2, v8, v2
	ds_write2_b32 v6, v9, v1 offset0:108 offset1:153
	ds_write2_b32 v11, v4, v10 offset0:70 offset1:115
	;; [unrolled: 1-line block ×3, first 2 shown]
	ds_write_b32 v7, v2 offset:6120
.LBB0_33:
	s_or_b32 exec_lo, exec_lo, s1
	s_waitcnt lgkmcnt(0)
	s_barrier
	buffer_gl0_inv
	s_and_saveexec_b32 s0, vcc_lo
	s_cbranch_execz .LBB0_35
; %bb.34:
	v_lshlrev_b32_e32 v35, 2, v61
	v_mov_b32_e32 v36, 0
	v_add_nc_u32_e32 v73, 0x600, v78
	v_add_nc_u32_e32 v75, 0x1000, v78
	;; [unrolled: 1-line block ×4, first 2 shown]
	v_lshlrev_b64 v[0:1], 3, v[35:36]
	v_lshlrev_b32_e32 v35, 2, v63
	v_add_nc_u32_e32 v85, 0x200, v78
	v_add_nc_u32_e32 v87, 0x400, v78
	;; [unrolled: 1-line block ×4, first 2 shown]
	v_add_co_u32 v4, vcc_lo, s8, v0
	v_add_co_ci_u32_e32 v5, vcc_lo, s9, v1, vcc_lo
	v_lshlrev_b64 v[2:3], 3, v[35:36]
	v_add_co_u32 v0, vcc_lo, 0x800, v4
	v_add_co_ci_u32_e32 v1, vcc_lo, 0, v5, vcc_lo
	v_add_co_u32 v4, vcc_lo, 0x9c0, v4
	v_add_co_ci_u32_e32 v5, vcc_lo, 0, v5, vcc_lo
	;; [unrolled: 2-line block ×3, first 2 shown]
	v_lshlrev_b32_e32 v35, 2, v62
	s_clause 0x1
	global_load_dwordx4 v[20:23], v[0:1], off offset:448
	global_load_dwordx4 v[16:19], v[4:5], off offset:16
	v_add_co_u32 v0, vcc_lo, 0x9c0, v2
	v_add_co_ci_u32_e32 v1, vcc_lo, 0, v3, vcc_lo
	v_add_co_u32 v2, vcc_lo, 0x800, v2
	v_lshlrev_b64 v[4:5], 3, v[35:36]
	v_add_co_ci_u32_e32 v3, vcc_lo, 0, v3, vcc_lo
	s_clause 0x1
	global_load_dwordx4 v[12:15], v[0:1], off offset:16
	global_load_dwordx4 v[8:11], v[2:3], off offset:448
	v_add_co_u32 v2, vcc_lo, s8, v4
	v_add_co_ci_u32_e32 v3, vcc_lo, s9, v5, vcc_lo
	v_lshlrev_b32_e32 v35, 2, v31
	v_add_co_u32 v0, vcc_lo, 0x9c0, v2
	v_add_co_ci_u32_e32 v1, vcc_lo, 0, v3, vcc_lo
	v_lshlrev_b64 v[24:25], 3, v[35:36]
	v_lshlrev_b32_e32 v35, 2, v34
	v_add_nc_u32_e32 v93, 0x1200, v78
	global_load_dwordx4 v[4:7], v[0:1], off offset:16
	v_add_co_u32 v0, vcc_lo, 0x800, v2
	v_add_co_ci_u32_e32 v1, vcc_lo, 0, v3, vcc_lo
	v_add_co_u32 v26, vcc_lo, s8, v24
	v_add_co_ci_u32_e32 v27, vcc_lo, s9, v25, vcc_lo
	global_load_dwordx4 v[0:3], v[0:1], off offset:448
	v_add_co_u32 v24, vcc_lo, 0x800, v26
	v_add_co_ci_u32_e32 v25, vcc_lo, 0, v27, vcc_lo
	v_lshlrev_b64 v[62:63], 3, v[35:36]
	global_load_dwordx4 v[28:31], v[24:25], off offset:448
	v_add_co_u32 v24, vcc_lo, 0x9c0, v26
	v_add_co_ci_u32_e32 v25, vcc_lo, 0, v27, vcc_lo
	v_add_co_u32 v35, vcc_lo, s8, v62
	v_add_co_ci_u32_e32 v69, vcc_lo, s9, v63, vcc_lo
	global_load_dwordx4 v[24:27], v[24:25], off offset:16
	v_add_co_u32 v62, vcc_lo, 0x800, v35
	v_add_co_ci_u32_e32 v63, vcc_lo, 0, v69, vcc_lo
	global_load_dwordx4 v[65:68], v[62:63], off offset:448
	v_add_co_u32 v62, vcc_lo, 0x9c0, v35
	v_add_co_ci_u32_e32 v63, vcc_lo, 0, v69, vcc_lo
	v_add_nc_u32_e32 v35, 0xc00, v78
	v_add_co_u32 v32, vcc_lo, s2, v32
	global_load_dwordx4 v[69:72], v[62:63], off offset:16
	ds_read2_b32 v[62:63], v35 offset0:114 offset1:177
	ds_read2_b32 v[73:74], v73 offset0:120 offset1:183
	ds_read_b32 v35, v78 offset:6048
	ds_read2_b32 v[75:76], v75 offset0:110 offset1:173
	ds_read2_b32 v[79:80], v78 offset0:126 offset1:189
	ds_read2_b32 v[77:78], v78 offset1:63
	ds_read2_b32 v[81:82], v81 offset0:106 offset1:169
	ds_read2_b32 v[83:84], v83 offset0:116 offset1:179
	;; [unrolled: 1-line block ×7, first 2 shown]
	v_add_co_ci_u32_e32 v33, vcc_lo, s3, v33, vcc_lo
	s_waitcnt vmcnt(9) lgkmcnt(12)
	v_mul_f32_e32 v95, v22, v62
	s_waitcnt lgkmcnt(11)
	v_mul_f32_e32 v96, v20, v74
	v_mul_f32_e32 v74, v21, v74
	;; [unrolled: 1-line block ×3, first 2 shown]
	s_waitcnt vmcnt(8) lgkmcnt(10)
	v_mul_f32_e32 v97, v18, v35
	v_mul_f32_e32 v35, v19, v35
	s_waitcnt lgkmcnt(9)
	v_mul_f32_e32 v98, v16, v76
	v_mul_f32_e32 v76, v17, v76
	v_fmac_f32_e32 v95, v43, v23
	v_fmac_f32_e32 v96, v58, v21
	v_fma_f32 v20, v58, v20, -v74
	v_fma_f32 v21, v43, v22, -v62
	v_fmac_f32_e32 v97, v64, v19
	v_fma_f32 v18, v64, v18, -v35
	v_fmac_f32_e32 v98, v60, v17
	v_fma_f32 v16, v60, v16, -v76
	s_waitcnt vmcnt(7)
	v_mul_f32_e32 v19, v12, v75
	v_mul_f32_e32 v17, v13, v75
	s_waitcnt lgkmcnt(6)
	v_mul_f32_e32 v22, v14, v82
	v_mul_f32_e32 v23, v15, v82
	s_waitcnt vmcnt(6)
	v_mul_f32_e32 v35, v8, v73
	v_mul_f32_e32 v43, v9, v73
	s_waitcnt lgkmcnt(5)
	v_mul_f32_e32 v58, v10, v84
	v_mul_f32_e32 v60, v11, v84
	v_fmac_f32_e32 v19, v59, v13
	v_fma_f32 v59, v59, v12, -v17
	v_fmac_f32_e32 v22, v56, v15
	v_fma_f32 v56, v56, v14, -v23
	;; [unrolled: 2-line block ×4, first 2 shown]
	s_waitcnt vmcnt(5)
	v_mul_f32_e32 v43, v6, v81
	v_mul_f32_e32 v9, v7, v81
	v_sub_f32_e32 v10, v95, v96
	v_sub_f32_e32 v13, v98, v97
	v_add_f32_e32 v14, v96, v97
	s_waitcnt vmcnt(4)
	v_mul_f32_e32 v57, v2, v83
	v_mul_f32_e32 v15, v3, v83
	s_waitcnt lgkmcnt(3)
	v_mul_f32_e32 v60, v0, v88
	v_mul_f32_e32 v62, v1, v88
	v_add_f32_e32 v76, v95, v98
	s_waitcnt lgkmcnt(2)
	v_mul_f32_e32 v54, v4, v90
	v_mul_f32_e32 v11, v5, v90
	v_sub_f32_e32 v23, v20, v18
	v_sub_f32_e32 v17, v21, v20
	v_sub_f32_e32 v64, v16, v18
	v_add_f32_e32 v73, v20, v18
	v_sub_f32_e32 v74, v96, v95
	v_sub_f32_e32 v75, v97, v98
	;; [unrolled: 1-line block ×4, first 2 shown]
	v_add_f32_e32 v83, v21, v16
	v_add_f32_e32 v84, v96, v85
	v_sub_f32_e32 v88, v21, v16
	v_add_f32_e32 v20, v39, v20
	v_fmac_f32_e32 v43, v55, v7
	v_fma_f32 v55, v55, v6, -v9
	v_fmac_f32_e32 v57, v53, v3
	v_fma_f32 v53, v53, v2, -v15
	;; [unrolled: 2-line block ×3, first 2 shown]
	v_add_f32_e32 v52, v10, v13
	v_fma_f32 v3, -0.5, v14, v85
	v_fma_f32 v1, -0.5, v76, v85
	v_sub_f32_e32 v9, v58, v35
	v_sub_f32_e32 v10, v19, v22
	s_waitcnt vmcnt(2) lgkmcnt(0)
	v_mul_f32_e32 v76, v26, v94
	v_mul_f32_e32 v14, v27, v94
	v_fmac_f32_e32 v54, v50, v5
	v_fma_f32 v50, v50, v4, -v11
	v_add_f32_e32 v62, v17, v64
	v_fma_f32 v2, -0.5, v73, v39
	v_add_f32_e32 v64, v74, v75
	v_add_f32_e32 v73, v81, v82
	v_fma_f32 v0, -0.5, v83, v39
	v_mul_f32_e32 v39, v28, v87
	v_mul_f32_e32 v4, v29, v87
	v_add_f32_e32 v5, v95, v84
	v_mul_f32_e32 v74, v30, v92
	v_mul_f32_e32 v6, v31, v92
	v_add_f32_e32 v7, v21, v20
	;; [unrolled: 3-line block ×3, first 2 shown]
	v_sub_f32_e32 v17, v12, v8
	v_sub_f32_e32 v20, v59, v56
	v_add_f32_e32 v21, v8, v56
	v_sub_f32_e32 v81, v35, v58
	v_sub_f32_e32 v82, v22, v19
	v_sub_f32_e32 v84, v8, v12
	v_sub_f32_e32 v85, v56, v59
	v_add_f32_e32 v87, v12, v59
	v_add_f32_e32 v89, v35, v80
	;; [unrolled: 1-line block ×3, first 2 shown]
	v_fmac_f32_e32 v76, v46, v27
	v_fma_f32 v99, v46, v26, -v14
	v_add_f32_e32 v46, v9, v10
	v_fmamk_f32 v9, v88, 0xbf737871, v3
	v_fmac_f32_e32 v3, 0x3f737871, v88
	v_sub_f32_e32 v90, v95, v98
	v_add_f32_e32 v83, v58, v19
	v_sub_f32_e32 v94, v58, v19
	v_fmac_f32_e32 v39, v51, v29
	v_fma_f32 v28, v51, v28, -v4
	v_sub_f32_e32 v29, v12, v59
	v_fmac_f32_e32 v74, v42, v31
	v_fma_f32 v42, v42, v30, -v6
	v_fmac_f32_e32 v75, v49, v25
	v_fma_f32 v95, v49, v24, -v11
	v_add_f32_e32 v14, v98, v5
	v_add_f32_e32 v16, v7, v16
	;; [unrolled: 1-line block ×3, first 2 shown]
	v_fma_f32 v5, -0.5, v13, v80
	v_fma_f32 v4, -0.5, v21, v48
	v_add_f32_e32 v81, v81, v82
	v_add_f32_e32 v82, v84, v85
	;; [unrolled: 1-line block ×5, first 2 shown]
	v_fma_f32 v6, -0.5, v87, v48
	v_add_f32_e32 v24, v60, v79
	v_add_f32_e32 v25, v15, v55
	;; [unrolled: 1-line block ×3, first 2 shown]
	v_fmamk_f32 v11, v23, 0xbf737871, v1
	v_fmac_f32_e32 v1, 0x3f737871, v23
	v_add_f32_e32 v27, v58, v89
	v_add_f32_e32 v30, v12, v92
	v_sub_f32_e32 v85, v53, v15
	v_sub_f32_e32 v87, v50, v55
	v_fmac_f32_e32 v9, 0x3f167918, v23
	v_fmac_f32_e32 v3, 0xbf167918, v23
	v_sub_f32_e32 v96, v96, v97
	v_sub_f32_e32 v51, v8, v56
	;; [unrolled: 1-line block ×3, first 2 shown]
	v_fma_f32 v7, -0.5, v83, v80
	v_fmamk_f32 v8, v90, 0x3f737871, v2
	v_fmac_f32_e32 v2, 0xbf737871, v90
	v_sub_f32_e32 v31, v60, v57
	v_sub_f32_e32 v48, v43, v54
	;; [unrolled: 1-line block ×4, first 2 shown]
	v_add_f32_e32 v13, v97, v14
	v_add_f32_e32 v12, v16, v18
	v_sub_f32_e32 v97, v15, v55
	v_fma_f32 v15, -0.5, v17, v79
	v_fma_f32 v14, -0.5, v20, v47
	;; [unrolled: 1-line block ×4, first 2 shown]
	v_fmac_f32_e32 v11, 0xbf167918, v88
	v_fmac_f32_e32 v1, 0x3f167918, v88
	v_add_f32_e32 v23, v19, v27
	v_add_f32_e32 v25, v30, v59
	;; [unrolled: 1-line block ×5, first 2 shown]
	v_fmamk_f32 v19, v29, 0xbf737871, v5
	v_fmamk_f32 v18, v94, 0x3f737871, v4
	v_fmac_f32_e32 v5, 0x3f737871, v29
	v_fmac_f32_e32 v4, 0xbf737871, v94
	v_sub_f32_e32 v27, v39, v74
	v_sub_f32_e32 v30, v76, v75
	v_sub_f32_e32 v47, v28, v42
	v_sub_f32_e32 v53, v99, v95
	v_add_f32_e32 v87, v39, v76
	v_fmac_f32_e32 v9, 0x3e9e377a, v52
	v_fmac_f32_e32 v3, 0x3e9e377a, v52
	v_add_f32_e32 v52, v39, v78
	v_fmamk_f32 v10, v96, 0x3f737871, v0
	v_fmac_f32_e32 v0, 0xbf737871, v96
	v_sub_f32_e32 v80, v55, v50
	v_sub_f32_e32 v83, v57, v60
	v_sub_f32_e32 v84, v54, v43
	v_sub_f32_e32 v92, v57, v54
	v_fmac_f32_e32 v8, 0xbf167918, v96
	v_fmac_f32_e32 v2, 0x3f167918, v96
	v_add_f32_e32 v48, v31, v48
	v_fmamk_f32 v21, v51, 0xbf737871, v7
	v_fmamk_f32 v20, v35, 0x3f737871, v6
	v_fmac_f32_e32 v7, 0x3f737871, v51
	v_fmac_f32_e32 v6, 0xbf737871, v35
	v_add_f32_e32 v31, v74, v75
	v_add_f32_e32 v57, v42, v95
	v_fmac_f32_e32 v11, 0x3e9e377a, v64
	v_fmac_f32_e32 v1, 0x3e9e377a, v64
	v_sub_f32_e32 v64, v42, v95
	v_fmac_f32_e32 v19, 0x3f167918, v51
	v_fmac_f32_e32 v5, 0xbf167918, v51
	;; [unrolled: 1-line block ×4, first 2 shown]
	v_add_f32_e32 v35, v54, v24
	v_add_f32_e32 v51, v27, v30
	;; [unrolled: 1-line block ×3, first 2 shown]
	v_fma_f32 v27, -0.5, v87, v78
	v_add_f32_e32 v47, v74, v52
	v_fmac_f32_e32 v10, 0x3f167918, v90
	v_fmac_f32_e32 v0, 0xbf167918, v90
	v_add_f32_e32 v58, v58, v80
	v_add_f32_e32 v59, v83, v84
	v_sub_f32_e32 v80, v74, v39
	v_sub_f32_e32 v83, v75, v76
	v_add_f32_e32 v88, v28, v99
	v_fmac_f32_e32 v8, 0x3e9e377a, v62
	v_fmac_f32_e32 v2, 0x3e9e377a, v62
	v_add_f32_e32 v62, v38, v28
	v_sub_f32_e32 v90, v28, v99
	v_sub_f32_e32 v96, v39, v76
	v_add_f32_e32 v23, v22, v23
	v_add_f32_e32 v22, v25, v56
	v_fma_f32 v25, -0.5, v31, v78
	v_fma_f32 v24, -0.5, v57, v38
	v_add_f32_e32 v39, v43, v35
	v_add_f32_e32 v35, v75, v47
	v_fmamk_f32 v47, v64, 0xbf737871, v27
	v_fmac_f32_e32 v27, 0x3f737871, v64
	v_sub_f32_e32 v60, v60, v43
	v_sub_f32_e32 v84, v42, v28
	v_fmac_f32_e32 v10, 0x3e9e377a, v73
	v_fmac_f32_e32 v0, 0x3e9e377a, v73
	v_sub_f32_e32 v73, v74, v75
	v_fmac_f32_e32 v21, 0xbf167918, v29
	v_fmac_f32_e32 v7, 0x3f167918, v29
	v_add_f32_e32 v50, v26, v50
	v_add_f32_e32 v54, v80, v83
	v_fma_f32 v26, -0.5, v88, v38
	v_fmamk_f32 v29, v97, 0x3f737871, v15
	v_fmac_f32_e32 v15, 0xbf737871, v97
	v_add_f32_e32 v52, v62, v42
	v_fmamk_f32 v43, v90, 0x3f737871, v25
	v_fmac_f32_e32 v25, 0xbf737871, v90
	v_fmamk_f32 v42, v96, 0xbf737871, v24
	v_fmac_f32_e32 v24, 0x3f737871, v96
	v_fmac_f32_e32 v47, 0x3f167918, v90
	;; [unrolled: 1-line block ×3, first 2 shown]
	v_sub_f32_e32 v85, v95, v99
	v_fmamk_f32 v31, v89, 0xbf737871, v17
	v_fmac_f32_e32 v17, 0x3f737871, v89
	v_fmamk_f32 v28, v60, 0xbf737871, v14
	v_fmac_f32_e32 v14, 0x3f737871, v60
	v_fmac_f32_e32 v19, 0x3e9e377a, v46
	;; [unrolled: 1-line block ×7, first 2 shown]
	v_fmamk_f32 v46, v73, 0x3f737871, v26
	v_fmac_f32_e32 v26, 0xbf737871, v73
	v_fmac_f32_e32 v43, 0x3f167918, v64
	;; [unrolled: 1-line block ×7, first 2 shown]
	v_add_f32_e32 v49, v76, v35
	s_waitcnt vmcnt(1)
	v_mul_f32_e32 v35, v67, v91
	s_waitcnt vmcnt(0)
	v_mul_f32_e32 v54, v69, v63
	v_mul_f32_e32 v98, v65, v86
	v_add_f32_e32 v56, v84, v85
	v_fmac_f32_e32 v28, 0xbf167918, v92
	v_fmac_f32_e32 v14, 0x3f167918, v92
	;; [unrolled: 1-line block ×4, first 2 shown]
	v_add_f32_e32 v38, v55, v50
	v_fmac_f32_e32 v29, 0x3e9e377a, v48
	v_fmac_f32_e32 v15, 0x3e9e377a, v48
	;; [unrolled: 1-line block ×8, first 2 shown]
	v_add_f32_e32 v48, v52, v95
	v_fmac_f32_e32 v35, v41, v68
	v_mul_f32_e32 v55, v71, v93
	v_mul_f32_e32 v50, v66, v86
	v_mul_f32_e32 v51, v72, v93
	v_fmac_f32_e32 v54, v44, v70
	v_mul_f32_e32 v52, v68, v91
	v_mul_f32_e32 v53, v70, v63
	v_fmac_f32_e32 v28, 0x3e9e377a, v58
	v_fmac_f32_e32 v14, 0x3e9e377a, v58
	;; [unrolled: 1-line block ×7, first 2 shown]
	v_fma_f32 v56, v40, v65, -v50
	v_fma_f32 v57, v45, v71, -v51
	v_add_f32_e32 v40, v35, v54
	v_fmac_f32_e32 v55, v45, v72
	v_fma_f32 v58, v41, v67, -v52
	v_fma_f32 v59, v44, v69, -v53
	v_sub_f32_e32 v65, v35, v54
	v_fma_f32 v41, -0.5, v40, v77
	v_sub_f32_e32 v40, v98, v35
	v_sub_f32_e32 v44, v55, v54
	v_add_f32_e32 v50, v58, v59
	v_sub_f32_e32 v68, v58, v56
	v_sub_f32_e32 v69, v59, v57
	;; [unrolled: 1-line block ×3, first 2 shown]
	v_add_f32_e32 v63, v40, v44
	v_fma_f32 v40, -0.5, v50, v37
	v_sub_f32_e32 v50, v56, v58
	v_add_f32_e32 v52, v98, v55
	v_add_f32_e32 v68, v68, v69
	v_add_f32_e32 v69, v98, v77
	v_sub_f32_e32 v67, v54, v55
	v_add_f32_e32 v66, v50, v51
	v_fma_f32 v51, -0.5, v52, v77
	v_add_f32_e32 v50, v56, v57
	v_sub_f32_e32 v52, v35, v98
	v_add_f32_e32 v35, v35, v69
	v_fmamk_f32 v30, v92, 0x3f737871, v16
	v_fmac_f32_e32 v16, 0xbf737871, v92
	v_fma_f32 v50, -0.5, v50, v37
	v_add_f32_e32 v37, v37, v56
	v_add_f32_e32 v54, v54, v35
	v_mov_b32_e32 v35, v36
	v_fmac_f32_e32 v30, 0xbf167918, v60
	v_fmac_f32_e32 v16, 0x3f167918, v60
	v_add_f32_e32 v37, v37, v58
	v_sub_f32_e32 v60, v56, v57
	v_lshlrev_b64 v[34:35], 3, v[34:35]
	v_sub_f32_e32 v62, v58, v59
	v_sub_f32_e32 v64, v98, v55
	v_add_f32_e32 v37, v37, v59
	v_add_f32_e32 v55, v55, v54
	v_fmamk_f32 v45, v60, 0x3f737871, v41
	v_add_co_u32 v32, vcc_lo, v32, v34
	v_mul_hi_u32 v34, 0xa01a01a1, v61
	v_add_f32_e32 v54, v57, v37
	v_add_co_ci_u32_e32 v33, vcc_lo, v33, v35, vcc_lo
	v_fmamk_f32 v44, v64, 0xbf737871, v40
	v_fmamk_f32 v53, v62, 0x3f737871, v51
	v_add_f32_e32 v67, v52, v67
	v_fmamk_f32 v52, v65, 0xbf737871, v50
	v_fmac_f32_e32 v41, 0xbf737871, v60
	v_fmac_f32_e32 v40, 0x3f737871, v64
	v_sub_nc_u32_e32 v35, v61, v34
	v_fmac_f32_e32 v51, 0xbf737871, v62
	v_fmac_f32_e32 v50, 0x3f737871, v65
	global_store_dwordx2 v[32:33], v[54:55], off
	v_add_co_u32 v54, vcc_lo, 0x800, v32
	v_add_co_ci_u32_e32 v55, vcc_lo, 0, v33, vcc_lo
	v_add_co_u32 v56, vcc_lo, 0x1000, v32
	v_fmac_f32_e32 v53, 0xbf167918, v60
	v_fmac_f32_e32 v52, 0x3f167918, v64
	;; [unrolled: 1-line block ×4, first 2 shown]
	v_lshrrev_b32_e32 v35, 1, v35
	v_fmac_f32_e32 v51, 0x3f167918, v60
	v_fmac_f32_e32 v50, 0xbf167918, v64
	v_add_co_ci_u32_e32 v57, vcc_lo, 0, v33, vcc_lo
	v_fmac_f32_e32 v45, 0x3f167918, v62
	v_fmac_f32_e32 v44, 0xbf167918, v65
	v_add_co_u32 v58, vcc_lo, 0x1800, v32
	v_add_co_ci_u32_e32 v59, vcc_lo, 0, v33, vcc_lo
	v_fmac_f32_e32 v53, 0x3e9e377a, v67
	v_fmac_f32_e32 v52, 0x3e9e377a, v68
	;; [unrolled: 1-line block ×4, first 2 shown]
	v_add_co_u32 v60, vcc_lo, 0x2000, v32
	v_add_nc_u32_e32 v34, v35, v34
	v_fmac_f32_e32 v51, 0x3e9e377a, v67
	v_fmac_f32_e32 v50, 0x3e9e377a, v68
	;; [unrolled: 1-line block ×4, first 2 shown]
	v_add_co_ci_u32_e32 v61, vcc_lo, 0, v33, vcc_lo
	v_add_f32_e32 v48, v99, v48
	global_store_dwordx2 v[54:55], v[40:41], off offset:472
	global_store_dwordx2 v[56:57], v[52:53], off offset:944
	;; [unrolled: 1-line block ×6, first 2 shown]
	v_lshrrev_b32_e32 v24, 8, v34
	v_add_co_u32 v40, vcc_lo, 0x2800, v32
	v_fmac_f32_e32 v16, 0x3e9e377a, v79
	v_fmac_f32_e32 v20, 0x3f167918, v94
	v_mul_u32_u24_e32 v35, 0x4ec, v24
	v_fmac_f32_e32 v30, 0x3e9e377a, v79
	v_add_co_ci_u32_e32 v41, vcc_lo, 0, v33, vcc_lo
	global_store_dwordx2 v[56:57], v[26:27], off offset:1448
	global_store_dwordx2 v[58:59], v[46:47], off offset:1920
	;; [unrolled: 1-line block ×8, first 2 shown]
	v_lshlrev_b64 v[14:15], 3, v[35:36]
	v_fmac_f32_e32 v6, 0xbf167918, v94
	v_fmac_f32_e32 v21, 0x3e9e377a, v81
	;; [unrolled: 1-line block ×4, first 2 shown]
	global_store_dwordx2 v[32:33], v[22:23], off offset:1512
	global_store_dwordx2 v[54:55], v[20:21], off offset:1984
	;; [unrolled: 1-line block ×4, first 2 shown]
	v_fmac_f32_e32 v6, 0x3e9e377a, v82
	v_add_co_u32 v4, vcc_lo, v32, v14
	v_add_co_ci_u32_e32 v5, vcc_lo, v33, v15, vcc_lo
	global_store_dwordx2 v[40:41], v[6:7], off offset:1352
	v_add_co_u32 v6, vcc_lo, 0x1000, v4
	v_add_co_ci_u32_e32 v7, vcc_lo, 0, v5, vcc_lo
	v_add_co_u32 v14, vcc_lo, 0x1800, v4
	v_add_co_ci_u32_e32 v15, vcc_lo, 0, v5, vcc_lo
	;; [unrolled: 2-line block ×4, first 2 shown]
	global_store_dwordx2 v[4:5], v[12:13], off offset:2016
	global_store_dwordx2 v[6:7], v[10:11], off offset:440
	;; [unrolled: 1-line block ×5, first 2 shown]
.LBB0_35:
	s_endpgm
	.section	.rodata,"a",@progbits
	.p2align	6, 0x0
	.amdhsa_kernel fft_rtc_fwd_len1575_factors_3_3_5_7_5_wgs_63_tpt_63_halfLds_sp_ip_CI_unitstride_sbrr_dirReg
		.amdhsa_group_segment_fixed_size 0
		.amdhsa_private_segment_fixed_size 0
		.amdhsa_kernarg_size 88
		.amdhsa_user_sgpr_count 6
		.amdhsa_user_sgpr_private_segment_buffer 1
		.amdhsa_user_sgpr_dispatch_ptr 0
		.amdhsa_user_sgpr_queue_ptr 0
		.amdhsa_user_sgpr_kernarg_segment_ptr 1
		.amdhsa_user_sgpr_dispatch_id 0
		.amdhsa_user_sgpr_flat_scratch_init 0
		.amdhsa_user_sgpr_private_segment_size 0
		.amdhsa_wavefront_size32 1
		.amdhsa_uses_dynamic_stack 0
		.amdhsa_system_sgpr_private_segment_wavefront_offset 0
		.amdhsa_system_sgpr_workgroup_id_x 1
		.amdhsa_system_sgpr_workgroup_id_y 0
		.amdhsa_system_sgpr_workgroup_id_z 0
		.amdhsa_system_sgpr_workgroup_info 0
		.amdhsa_system_vgpr_workitem_id 0
		.amdhsa_next_free_vgpr 123
		.amdhsa_next_free_sgpr 21
		.amdhsa_reserve_vcc 1
		.amdhsa_reserve_flat_scratch 0
		.amdhsa_float_round_mode_32 0
		.amdhsa_float_round_mode_16_64 0
		.amdhsa_float_denorm_mode_32 3
		.amdhsa_float_denorm_mode_16_64 3
		.amdhsa_dx10_clamp 1
		.amdhsa_ieee_mode 1
		.amdhsa_fp16_overflow 0
		.amdhsa_workgroup_processor_mode 1
		.amdhsa_memory_ordered 1
		.amdhsa_forward_progress 0
		.amdhsa_shared_vgpr_count 0
		.amdhsa_exception_fp_ieee_invalid_op 0
		.amdhsa_exception_fp_denorm_src 0
		.amdhsa_exception_fp_ieee_div_zero 0
		.amdhsa_exception_fp_ieee_overflow 0
		.amdhsa_exception_fp_ieee_underflow 0
		.amdhsa_exception_fp_ieee_inexact 0
		.amdhsa_exception_int_div_zero 0
	.end_amdhsa_kernel
	.text
.Lfunc_end0:
	.size	fft_rtc_fwd_len1575_factors_3_3_5_7_5_wgs_63_tpt_63_halfLds_sp_ip_CI_unitstride_sbrr_dirReg, .Lfunc_end0-fft_rtc_fwd_len1575_factors_3_3_5_7_5_wgs_63_tpt_63_halfLds_sp_ip_CI_unitstride_sbrr_dirReg
                                        ; -- End function
	.section	.AMDGPU.csdata,"",@progbits
; Kernel info:
; codeLenInByte = 15392
; NumSgprs: 23
; NumVgprs: 123
; ScratchSize: 0
; MemoryBound: 0
; FloatMode: 240
; IeeeMode: 1
; LDSByteSize: 0 bytes/workgroup (compile time only)
; SGPRBlocks: 2
; VGPRBlocks: 15
; NumSGPRsForWavesPerEU: 23
; NumVGPRsForWavesPerEU: 123
; Occupancy: 8
; WaveLimiterHint : 1
; COMPUTE_PGM_RSRC2:SCRATCH_EN: 0
; COMPUTE_PGM_RSRC2:USER_SGPR: 6
; COMPUTE_PGM_RSRC2:TRAP_HANDLER: 0
; COMPUTE_PGM_RSRC2:TGID_X_EN: 1
; COMPUTE_PGM_RSRC2:TGID_Y_EN: 0
; COMPUTE_PGM_RSRC2:TGID_Z_EN: 0
; COMPUTE_PGM_RSRC2:TIDIG_COMP_CNT: 0
	.text
	.p2alignl 6, 3214868480
	.fill 48, 4, 3214868480
	.type	__hip_cuid_b1b81ff45ba1bf11,@object ; @__hip_cuid_b1b81ff45ba1bf11
	.section	.bss,"aw",@nobits
	.globl	__hip_cuid_b1b81ff45ba1bf11
__hip_cuid_b1b81ff45ba1bf11:
	.byte	0                               ; 0x0
	.size	__hip_cuid_b1b81ff45ba1bf11, 1

	.ident	"AMD clang version 19.0.0git (https://github.com/RadeonOpenCompute/llvm-project roc-6.4.0 25133 c7fe45cf4b819c5991fe208aaa96edf142730f1d)"
	.section	".note.GNU-stack","",@progbits
	.addrsig
	.addrsig_sym __hip_cuid_b1b81ff45ba1bf11
	.amdgpu_metadata
---
amdhsa.kernels:
  - .args:
      - .actual_access:  read_only
        .address_space:  global
        .offset:         0
        .size:           8
        .value_kind:     global_buffer
      - .offset:         8
        .size:           8
        .value_kind:     by_value
      - .actual_access:  read_only
        .address_space:  global
        .offset:         16
        .size:           8
        .value_kind:     global_buffer
      - .actual_access:  read_only
        .address_space:  global
        .offset:         24
        .size:           8
        .value_kind:     global_buffer
      - .offset:         32
        .size:           8
        .value_kind:     by_value
      - .actual_access:  read_only
        .address_space:  global
        .offset:         40
        .size:           8
        .value_kind:     global_buffer
      - .actual_access:  read_only
        .address_space:  global
        .offset:         48
        .size:           8
        .value_kind:     global_buffer
      - .offset:         56
        .size:           4
        .value_kind:     by_value
      - .actual_access:  read_only
        .address_space:  global
        .offset:         64
        .size:           8
        .value_kind:     global_buffer
      - .actual_access:  read_only
        .address_space:  global
        .offset:         72
        .size:           8
        .value_kind:     global_buffer
      - .address_space:  global
        .offset:         80
        .size:           8
        .value_kind:     global_buffer
    .group_segment_fixed_size: 0
    .kernarg_segment_align: 8
    .kernarg_segment_size: 88
    .language:       OpenCL C
    .language_version:
      - 2
      - 0
    .max_flat_workgroup_size: 63
    .name:           fft_rtc_fwd_len1575_factors_3_3_5_7_5_wgs_63_tpt_63_halfLds_sp_ip_CI_unitstride_sbrr_dirReg
    .private_segment_fixed_size: 0
    .sgpr_count:     23
    .sgpr_spill_count: 0
    .symbol:         fft_rtc_fwd_len1575_factors_3_3_5_7_5_wgs_63_tpt_63_halfLds_sp_ip_CI_unitstride_sbrr_dirReg.kd
    .uniform_work_group_size: 1
    .uses_dynamic_stack: false
    .vgpr_count:     123
    .vgpr_spill_count: 0
    .wavefront_size: 32
    .workgroup_processor_mode: 1
amdhsa.target:   amdgcn-amd-amdhsa--gfx1030
amdhsa.version:
  - 1
  - 2
...

	.end_amdgpu_metadata
